;; amdgpu-corpus repo=ROCm/rocFFT kind=compiled arch=gfx1201 opt=O3
	.text
	.amdgcn_target "amdgcn-amd-amdhsa--gfx1201"
	.amdhsa_code_object_version 6
	.protected	fft_rtc_fwd_len2250_factors_10_3_5_3_5_wgs_90_tpt_90_halfLds_sp_op_CI_CI_unitstride_sbrr_dirReg ; -- Begin function fft_rtc_fwd_len2250_factors_10_3_5_3_5_wgs_90_tpt_90_halfLds_sp_op_CI_CI_unitstride_sbrr_dirReg
	.globl	fft_rtc_fwd_len2250_factors_10_3_5_3_5_wgs_90_tpt_90_halfLds_sp_op_CI_CI_unitstride_sbrr_dirReg
	.p2align	8
	.type	fft_rtc_fwd_len2250_factors_10_3_5_3_5_wgs_90_tpt_90_halfLds_sp_op_CI_CI_unitstride_sbrr_dirReg,@function
fft_rtc_fwd_len2250_factors_10_3_5_3_5_wgs_90_tpt_90_halfLds_sp_op_CI_CI_unitstride_sbrr_dirReg: ; @fft_rtc_fwd_len2250_factors_10_3_5_3_5_wgs_90_tpt_90_halfLds_sp_op_CI_CI_unitstride_sbrr_dirReg
; %bb.0:
	s_clause 0x2
	s_load_b128 s[8:11], s[0:1], 0x0
	s_load_b128 s[4:7], s[0:1], 0x58
	;; [unrolled: 1-line block ×3, first 2 shown]
	v_mul_u32_u24_e32 v1, 0x2d9, v0
	v_mov_b32_e32 v5, 0
	v_mov_b32_e32 v29, 0
	;; [unrolled: 1-line block ×3, first 2 shown]
	s_delay_alu instid0(VALU_DEP_4) | instskip(NEXT) | instid1(VALU_DEP_1)
	v_lshrrev_b32_e32 v1, 16, v1
	v_dual_mov_b32 v8, v5 :: v_dual_add_nc_u32 v7, ttmp9, v1
	s_wait_kmcnt 0x0
	v_cmp_lt_u64_e64 s2, s[10:11], 2
	s_delay_alu instid0(VALU_DEP_1)
	s_and_b32 vcc_lo, exec_lo, s2
	s_cbranch_vccnz .LBB0_8
; %bb.1:
	s_load_b64 s[2:3], s[0:1], 0x10
	v_mov_b32_e32 v29, 0
	v_mov_b32_e32 v30, 0
	s_delay_alu instid0(VALU_DEP_2)
	v_mov_b32_e32 v1, v29
	s_add_nc_u64 s[16:17], s[14:15], 8
	s_add_nc_u64 s[18:19], s[12:13], 8
	s_mov_b64 s[20:21], 1
	v_mov_b32_e32 v2, v30
	s_wait_kmcnt 0x0
	s_add_nc_u64 s[22:23], s[2:3], 8
	s_mov_b32 s3, 0
.LBB0_2:                                ; =>This Inner Loop Header: Depth=1
	s_load_b64 s[24:25], s[22:23], 0x0
                                        ; implicit-def: $vgpr3_vgpr4
	s_mov_b32 s2, exec_lo
	s_wait_kmcnt 0x0
	v_or_b32_e32 v6, s25, v8
	s_delay_alu instid0(VALU_DEP_1)
	v_cmpx_ne_u64_e32 0, v[5:6]
	s_wait_alu 0xfffe
	s_xor_b32 s26, exec_lo, s2
	s_cbranch_execz .LBB0_4
; %bb.3:                                ;   in Loop: Header=BB0_2 Depth=1
	s_cvt_f32_u32 s2, s24
	s_cvt_f32_u32 s27, s25
	s_sub_nc_u64 s[30:31], 0, s[24:25]
	s_wait_alu 0xfffe
	s_delay_alu instid0(SALU_CYCLE_1) | instskip(SKIP_1) | instid1(SALU_CYCLE_2)
	s_fmamk_f32 s2, s27, 0x4f800000, s2
	s_wait_alu 0xfffe
	v_s_rcp_f32 s2, s2
	s_delay_alu instid0(TRANS32_DEP_1) | instskip(SKIP_1) | instid1(SALU_CYCLE_2)
	s_mul_f32 s2, s2, 0x5f7ffffc
	s_wait_alu 0xfffe
	s_mul_f32 s27, s2, 0x2f800000
	s_wait_alu 0xfffe
	s_delay_alu instid0(SALU_CYCLE_2) | instskip(SKIP_1) | instid1(SALU_CYCLE_2)
	s_trunc_f32 s27, s27
	s_wait_alu 0xfffe
	s_fmamk_f32 s2, s27, 0xcf800000, s2
	s_cvt_u32_f32 s29, s27
	s_wait_alu 0xfffe
	s_delay_alu instid0(SALU_CYCLE_1) | instskip(SKIP_1) | instid1(SALU_CYCLE_2)
	s_cvt_u32_f32 s28, s2
	s_wait_alu 0xfffe
	s_mul_u64 s[34:35], s[30:31], s[28:29]
	s_wait_alu 0xfffe
	s_mul_hi_u32 s37, s28, s35
	s_mul_i32 s36, s28, s35
	s_mul_hi_u32 s2, s28, s34
	s_mul_i32 s33, s29, s34
	s_wait_alu 0xfffe
	s_add_nc_u64 s[36:37], s[2:3], s[36:37]
	s_mul_hi_u32 s27, s29, s34
	s_mul_hi_u32 s38, s29, s35
	s_add_co_u32 s2, s36, s33
	s_wait_alu 0xfffe
	s_add_co_ci_u32 s2, s37, s27
	s_mul_i32 s34, s29, s35
	s_add_co_ci_u32 s35, s38, 0
	s_wait_alu 0xfffe
	s_add_nc_u64 s[34:35], s[2:3], s[34:35]
	s_wait_alu 0xfffe
	v_add_co_u32 v3, s2, s28, s34
	s_delay_alu instid0(VALU_DEP_1) | instskip(SKIP_1) | instid1(VALU_DEP_1)
	s_cmp_lg_u32 s2, 0
	s_add_co_ci_u32 s29, s29, s35
	v_readfirstlane_b32 s28, v3
	s_wait_alu 0xfffe
	s_delay_alu instid0(VALU_DEP_1)
	s_mul_u64 s[30:31], s[30:31], s[28:29]
	s_wait_alu 0xfffe
	s_mul_hi_u32 s35, s28, s31
	s_mul_i32 s34, s28, s31
	s_mul_hi_u32 s2, s28, s30
	s_mul_i32 s33, s29, s30
	s_wait_alu 0xfffe
	s_add_nc_u64 s[34:35], s[2:3], s[34:35]
	s_mul_hi_u32 s27, s29, s30
	s_mul_hi_u32 s28, s29, s31
	s_wait_alu 0xfffe
	s_add_co_u32 s2, s34, s33
	s_add_co_ci_u32 s2, s35, s27
	s_mul_i32 s30, s29, s31
	s_add_co_ci_u32 s31, s28, 0
	s_wait_alu 0xfffe
	s_add_nc_u64 s[30:31], s[2:3], s[30:31]
	s_wait_alu 0xfffe
	v_add_co_u32 v6, s2, v3, s30
	s_delay_alu instid0(VALU_DEP_1) | instskip(SKIP_1) | instid1(VALU_DEP_1)
	s_cmp_lg_u32 s2, 0
	s_add_co_ci_u32 s2, s29, s31
	v_mul_hi_u32 v13, v7, v6
	s_wait_alu 0xfffe
	v_mad_co_u64_u32 v[3:4], null, v7, s2, 0
	v_mad_co_u64_u32 v[9:10], null, v8, v6, 0
	;; [unrolled: 1-line block ×3, first 2 shown]
	s_delay_alu instid0(VALU_DEP_3) | instskip(SKIP_1) | instid1(VALU_DEP_4)
	v_add_co_u32 v3, vcc_lo, v13, v3
	s_wait_alu 0xfffd
	v_add_co_ci_u32_e32 v4, vcc_lo, 0, v4, vcc_lo
	s_delay_alu instid0(VALU_DEP_2) | instskip(SKIP_1) | instid1(VALU_DEP_2)
	v_add_co_u32 v3, vcc_lo, v3, v9
	s_wait_alu 0xfffd
	v_add_co_ci_u32_e32 v3, vcc_lo, v4, v10, vcc_lo
	s_wait_alu 0xfffd
	v_add_co_ci_u32_e32 v4, vcc_lo, 0, v12, vcc_lo
	s_delay_alu instid0(VALU_DEP_2) | instskip(SKIP_1) | instid1(VALU_DEP_2)
	v_add_co_u32 v6, vcc_lo, v3, v11
	s_wait_alu 0xfffd
	v_add_co_ci_u32_e32 v9, vcc_lo, 0, v4, vcc_lo
	s_delay_alu instid0(VALU_DEP_2) | instskip(SKIP_1) | instid1(VALU_DEP_3)
	v_mul_lo_u32 v10, s25, v6
	v_mad_co_u64_u32 v[3:4], null, s24, v6, 0
	v_mul_lo_u32 v11, s24, v9
	s_delay_alu instid0(VALU_DEP_2) | instskip(NEXT) | instid1(VALU_DEP_2)
	v_sub_co_u32 v3, vcc_lo, v7, v3
	v_add3_u32 v4, v4, v11, v10
	s_delay_alu instid0(VALU_DEP_1) | instskip(SKIP_1) | instid1(VALU_DEP_1)
	v_sub_nc_u32_e32 v10, v8, v4
	s_wait_alu 0xfffd
	v_subrev_co_ci_u32_e64 v10, s2, s25, v10, vcc_lo
	v_add_co_u32 v11, s2, v6, 2
	s_wait_alu 0xf1ff
	v_add_co_ci_u32_e64 v12, s2, 0, v9, s2
	v_sub_co_u32 v13, s2, v3, s24
	v_sub_co_ci_u32_e32 v4, vcc_lo, v8, v4, vcc_lo
	s_wait_alu 0xf1ff
	v_subrev_co_ci_u32_e64 v10, s2, 0, v10, s2
	s_delay_alu instid0(VALU_DEP_3) | instskip(NEXT) | instid1(VALU_DEP_3)
	v_cmp_le_u32_e32 vcc_lo, s24, v13
	v_cmp_eq_u32_e64 s2, s25, v4
	s_wait_alu 0xfffd
	v_cndmask_b32_e64 v13, 0, -1, vcc_lo
	v_cmp_le_u32_e32 vcc_lo, s25, v10
	s_wait_alu 0xfffd
	v_cndmask_b32_e64 v14, 0, -1, vcc_lo
	v_cmp_le_u32_e32 vcc_lo, s24, v3
	;; [unrolled: 3-line block ×3, first 2 shown]
	s_wait_alu 0xfffd
	v_cndmask_b32_e64 v15, 0, -1, vcc_lo
	v_cmp_eq_u32_e32 vcc_lo, s25, v10
	s_wait_alu 0xf1ff
	s_delay_alu instid0(VALU_DEP_2)
	v_cndmask_b32_e64 v3, v15, v3, s2
	s_wait_alu 0xfffd
	v_cndmask_b32_e32 v10, v14, v13, vcc_lo
	v_add_co_u32 v13, vcc_lo, v6, 1
	s_wait_alu 0xfffd
	v_add_co_ci_u32_e32 v14, vcc_lo, 0, v9, vcc_lo
	s_delay_alu instid0(VALU_DEP_3) | instskip(SKIP_1) | instid1(VALU_DEP_2)
	v_cmp_ne_u32_e32 vcc_lo, 0, v10
	s_wait_alu 0xfffd
	v_cndmask_b32_e32 v4, v14, v12, vcc_lo
	v_cndmask_b32_e32 v10, v13, v11, vcc_lo
	v_cmp_ne_u32_e32 vcc_lo, 0, v3
	s_wait_alu 0xfffd
	s_delay_alu instid0(VALU_DEP_2)
	v_dual_cndmask_b32 v4, v9, v4 :: v_dual_cndmask_b32 v3, v6, v10
.LBB0_4:                                ;   in Loop: Header=BB0_2 Depth=1
	s_wait_alu 0xfffe
	s_and_not1_saveexec_b32 s2, s26
	s_cbranch_execz .LBB0_6
; %bb.5:                                ;   in Loop: Header=BB0_2 Depth=1
	v_cvt_f32_u32_e32 v3, s24
	s_sub_co_i32 s26, 0, s24
	s_delay_alu instid0(VALU_DEP_1) | instskip(NEXT) | instid1(TRANS32_DEP_1)
	v_rcp_iflag_f32_e32 v3, v3
	v_mul_f32_e32 v3, 0x4f7ffffe, v3
	s_delay_alu instid0(VALU_DEP_1) | instskip(SKIP_1) | instid1(VALU_DEP_1)
	v_cvt_u32_f32_e32 v3, v3
	s_wait_alu 0xfffe
	v_mul_lo_u32 v4, s26, v3
	s_delay_alu instid0(VALU_DEP_1) | instskip(NEXT) | instid1(VALU_DEP_1)
	v_mul_hi_u32 v4, v3, v4
	v_add_nc_u32_e32 v3, v3, v4
	s_delay_alu instid0(VALU_DEP_1) | instskip(NEXT) | instid1(VALU_DEP_1)
	v_mul_hi_u32 v3, v7, v3
	v_mul_lo_u32 v4, v3, s24
	v_add_nc_u32_e32 v6, 1, v3
	s_delay_alu instid0(VALU_DEP_2) | instskip(NEXT) | instid1(VALU_DEP_1)
	v_sub_nc_u32_e32 v4, v7, v4
	v_subrev_nc_u32_e32 v9, s24, v4
	v_cmp_le_u32_e32 vcc_lo, s24, v4
	s_wait_alu 0xfffd
	s_delay_alu instid0(VALU_DEP_2) | instskip(NEXT) | instid1(VALU_DEP_1)
	v_dual_cndmask_b32 v4, v4, v9 :: v_dual_cndmask_b32 v3, v3, v6
	v_cmp_le_u32_e32 vcc_lo, s24, v4
	v_mov_b32_e32 v4, v5
	s_delay_alu instid0(VALU_DEP_3) | instskip(SKIP_1) | instid1(VALU_DEP_1)
	v_add_nc_u32_e32 v6, 1, v3
	s_wait_alu 0xfffd
	v_cndmask_b32_e32 v3, v3, v6, vcc_lo
.LBB0_6:                                ;   in Loop: Header=BB0_2 Depth=1
	s_wait_alu 0xfffe
	s_or_b32 exec_lo, exec_lo, s2
	v_mul_lo_u32 v6, v4, s24
	s_delay_alu instid0(VALU_DEP_2)
	v_mul_lo_u32 v11, v3, s25
	s_load_b64 s[26:27], s[18:19], 0x0
	v_mad_co_u64_u32 v[9:10], null, v3, s24, 0
	s_load_b64 s[24:25], s[16:17], 0x0
	s_add_nc_u64 s[20:21], s[20:21], 1
	s_add_nc_u64 s[16:17], s[16:17], 8
	s_wait_alu 0xfffe
	v_cmp_ge_u64_e64 s2, s[20:21], s[10:11]
	s_add_nc_u64 s[18:19], s[18:19], 8
	s_add_nc_u64 s[22:23], s[22:23], 8
	v_add3_u32 v6, v10, v11, v6
	v_sub_co_u32 v7, vcc_lo, v7, v9
	s_wait_alu 0xfffd
	s_delay_alu instid0(VALU_DEP_2) | instskip(SKIP_2) | instid1(VALU_DEP_1)
	v_sub_co_ci_u32_e32 v6, vcc_lo, v8, v6, vcc_lo
	s_and_b32 vcc_lo, exec_lo, s2
	s_wait_kmcnt 0x0
	v_mul_lo_u32 v8, s26, v6
	v_mul_lo_u32 v9, s27, v7
	v_mad_co_u64_u32 v[29:30], null, s26, v7, v[29:30]
	v_mul_lo_u32 v6, s24, v6
	v_mul_lo_u32 v10, s25, v7
	v_mad_co_u64_u32 v[1:2], null, s24, v7, v[1:2]
	s_delay_alu instid0(VALU_DEP_4) | instskip(NEXT) | instid1(VALU_DEP_2)
	v_add3_u32 v30, v9, v30, v8
	v_add3_u32 v2, v10, v2, v6
	s_wait_alu 0xfffe
	s_cbranch_vccnz .LBB0_9
; %bb.7:                                ;   in Loop: Header=BB0_2 Depth=1
	v_dual_mov_b32 v8, v4 :: v_dual_mov_b32 v7, v3
	s_branch .LBB0_2
.LBB0_8:
	v_dual_mov_b32 v1, v29 :: v_dual_mov_b32 v2, v30
	v_dual_mov_b32 v3, v7 :: v_dual_mov_b32 v4, v8
.LBB0_9:
	s_load_b64 s[0:1], s[0:1], 0x28
	v_mul_hi_u32 v5, 0x2d82d83, v0
	s_lshl_b64 s[10:11], s[10:11], 3
                                        ; implicit-def: $vgpr92
	s_wait_alu 0xfffe
	s_add_nc_u64 s[2:3], s[14:15], s[10:11]
	s_wait_kmcnt 0x0
	v_cmp_gt_u64_e32 vcc_lo, s[0:1], v[3:4]
	v_cmp_le_u64_e64 s0, s[0:1], v[3:4]
	s_delay_alu instid0(VALU_DEP_1)
	s_and_saveexec_b32 s1, s0
	s_wait_alu 0xfffe
	s_xor_b32 s0, exec_lo, s1
; %bb.10:
	v_mul_u32_u24_e32 v5, 0x5a, v5
                                        ; implicit-def: $vgpr29_vgpr30
	s_delay_alu instid0(VALU_DEP_1)
	v_sub_nc_u32_e32 v92, v0, v5
                                        ; implicit-def: $vgpr5
                                        ; implicit-def: $vgpr0
; %bb.11:
	s_wait_alu 0xfffe
	s_or_saveexec_b32 s1, s0
	s_load_b64 s[2:3], s[2:3], 0x0
                                        ; implicit-def: $vgpr26
                                        ; implicit-def: $vgpr16
                                        ; implicit-def: $vgpr22
                                        ; implicit-def: $vgpr14
                                        ; implicit-def: $vgpr24
                                        ; implicit-def: $vgpr12
                                        ; implicit-def: $vgpr20
                                        ; implicit-def: $vgpr10
                                        ; implicit-def: $vgpr8
                                        ; implicit-def: $vgpr6
                                        ; implicit-def: $vgpr31
                                        ; implicit-def: $vgpr45
                                        ; implicit-def: $vgpr33
                                        ; implicit-def: $vgpr43
                                        ; implicit-def: $vgpr35
                                        ; implicit-def: $vgpr41
                                        ; implicit-def: $vgpr37
                                        ; implicit-def: $vgpr39
                                        ; implicit-def: $vgpr28
                                        ; implicit-def: $vgpr18
                                        ; implicit-def: $vgpr69
                                        ; implicit-def: $vgpr63
                                        ; implicit-def: $vgpr71
                                        ; implicit-def: $vgpr61
                                        ; implicit-def: $vgpr73
                                        ; implicit-def: $vgpr67
                                        ; implicit-def: $vgpr75
                                        ; implicit-def: $vgpr65
                                        ; implicit-def: $vgpr51
                                        ; implicit-def: $vgpr47
	s_xor_b32 exec_lo, exec_lo, s1
	s_cbranch_execz .LBB0_15
; %bb.12:
	s_add_nc_u64 s[10:11], s[12:13], s[10:11]
                                        ; implicit-def: $vgpr19
                                        ; implicit-def: $vgpr11
                                        ; implicit-def: $vgpr23
                                        ; implicit-def: $vgpr13
                                        ; implicit-def: $vgpr21
                                        ; implicit-def: $vgpr15
                                        ; implicit-def: $vgpr25
	s_load_b64 s[10:11], s[10:11], 0x0
	s_wait_kmcnt 0x0
	v_mul_lo_u32 v8, s11, v3
	v_mul_lo_u32 v9, s10, v4
	v_mad_co_u64_u32 v[6:7], null, s10, v3, 0
	s_delay_alu instid0(VALU_DEP_1) | instskip(SKIP_1) | instid1(VALU_DEP_2)
	v_add3_u32 v7, v7, v9, v8
	v_mul_u32_u24_e32 v9, 0x5a, v5
	v_lshlrev_b64_e32 v[5:6], 3, v[6:7]
	v_lshlrev_b64_e32 v[7:8], 3, v[29:30]
	s_delay_alu instid0(VALU_DEP_3) | instskip(NEXT) | instid1(VALU_DEP_3)
	v_sub_nc_u32_e32 v92, v0, v9
                                        ; implicit-def: $vgpr9
	v_add_co_u32 v0, s0, s4, v5
	s_wait_alu 0xf1ff
	s_delay_alu instid0(VALU_DEP_4) | instskip(NEXT) | instid1(VALU_DEP_3)
	v_add_co_ci_u32_e64 v5, s0, s5, v6, s0
	v_lshlrev_b32_e32 v6, 3, v92
	s_delay_alu instid0(VALU_DEP_3) | instskip(SKIP_1) | instid1(VALU_DEP_3)
	v_add_co_u32 v0, s0, v0, v7
	s_wait_alu 0xf1ff
	v_add_co_ci_u32_e64 v5, s0, v5, v8, s0
	s_mov_b32 s4, exec_lo
	s_delay_alu instid0(VALU_DEP_2) | instskip(SKIP_1) | instid1(VALU_DEP_2)
	v_add_co_u32 v48, s0, v0, v6
	s_wait_alu 0xf1ff
	v_add_co_ci_u32_e64 v49, s0, 0, v5, s0
                                        ; implicit-def: $vgpr5
                                        ; implicit-def: $vgpr7
	s_clause 0x13
	global_load_b64 v[46:47], v[48:49], off
	global_load_b64 v[64:65], v[48:49], off offset:3600
	global_load_b64 v[66:67], v[48:49], off offset:7200
	;; [unrolled: 1-line block ×19, first 2 shown]
	v_cmpx_gt_u32_e32 45, v92
; %bb.13:
	s_clause 0x9
	global_load_b64 v[5:6], v[48:49], off offset:1440
	global_load_b64 v[7:8], v[48:49], off offset:3240
	;; [unrolled: 1-line block ×10, first 2 shown]
; %bb.14:
	s_wait_alu 0xfffe
	s_or_b32 exec_lo, exec_lo, s4
.LBB0_15:
	s_delay_alu instid0(SALU_CYCLE_1)
	s_or_b32 exec_lo, exec_lo, s1
	s_wait_loadcnt 0x10
	v_dual_add_f32 v0, v60, v66 :: v_dual_sub_f32 v49, v67, v61
	s_wait_loadcnt 0xf
	v_dual_add_f32 v29, v64, v46 :: v_dual_sub_f32 v48, v65, v63
	v_dual_sub_f32 v52, v64, v66 :: v_dual_sub_f32 v53, v62, v60
	s_delay_alu instid0(VALU_DEP_3) | instskip(NEXT) | instid1(VALU_DEP_3)
	v_fma_f32 v0, -0.5, v0, v46
	v_add_f32_e32 v29, v66, v29
	s_wait_loadcnt 0xa
	v_add_f32_e32 v55, v74, v50
	s_wait_loadcnt 0x1
	v_sub_f32_e32 v58, v68, v70
	v_add_f32_e32 v52, v53, v52
	v_fmamk_f32 v56, v48, 0x3f737871, v0
	v_dual_add_f32 v54, v62, v64 :: v_dual_add_f32 v29, v60, v29
	v_fmac_f32_e32 v0, 0xbf737871, v48
	v_add_f32_e32 v53, v70, v72
	v_add_f32_e32 v78, v38, v17
	s_delay_alu instid0(VALU_DEP_4) | instskip(NEXT) | instid1(VALU_DEP_4)
	v_dual_fmac_f32 v46, -0.5, v54 :: v_dual_add_f32 v29, v62, v29
	v_fmac_f32_e32 v0, 0xbf167918, v49
	v_sub_f32_e32 v54, v60, v62
	v_fma_f32 v93, -0.5, v53, v50
	s_delay_alu instid0(VALU_DEP_4) | instskip(SKIP_3) | instid1(VALU_DEP_4)
	v_fmamk_f32 v57, v49, 0xbf737871, v46
	v_fmac_f32_e32 v56, 0x3f167918, v49
	v_dual_fmac_f32 v46, 0x3f737871, v49 :: v_dual_add_f32 v49, v72, v55
	v_fmac_f32_e32 v0, 0x3e9e377a, v52
	v_fmac_f32_e32 v57, 0x3f167918, v48
	s_delay_alu instid0(VALU_DEP_4)
	v_dual_fmac_f32 v56, 0x3e9e377a, v52 :: v_dual_sub_f32 v53, v75, v69
	v_sub_f32_e32 v52, v66, v64
	v_sub_f32_e32 v55, v74, v72
	v_add_f32_e32 v84, v30, v36
	v_cmp_gt_u32_e64 s1, 45, v92
	v_fmamk_f32 v94, v53, 0x3f737871, v93
	v_dual_add_f32 v52, v54, v52 :: v_dual_fmac_f32 v93, 0xbf737871, v53
	v_sub_f32_e32 v54, v73, v71
	v_add_f32_e32 v55, v58, v55
	v_add_f32_e32 v79, v42, v40
	s_delay_alu instid0(VALU_DEP_4) | instskip(NEXT) | instid1(VALU_DEP_4)
	v_fmac_f32_e32 v57, 0x3e9e377a, v52
	v_dual_fmac_f32 v46, 0xbf167918, v48 :: v_dual_fmac_f32 v93, 0xbf167918, v54
	v_dual_add_f32 v48, v70, v49 :: v_dual_add_f32 v49, v68, v74
	s_delay_alu instid0(VALU_DEP_4) | instskip(NEXT) | instid1(VALU_DEP_3)
	v_fma_f32 v82, -0.5, v79, v17
	v_dual_fmac_f32 v46, 0x3e9e377a, v52 :: v_dual_fmac_f32 v93, 0x3e9e377a, v55
	s_wait_loadcnt 0x0
	s_delay_alu instid0(VALU_DEP_3) | instskip(SKIP_2) | instid1(VALU_DEP_3)
	v_dual_sub_f32 v79, v44, v42 :: v_dual_fmac_f32 v50, -0.5, v49
	v_sub_f32_e32 v49, v72, v74
	v_sub_f32_e32 v83, v30, v32
	v_fmamk_f32 v96, v54, 0xbf737871, v50
	v_fmac_f32_e32 v50, 0x3f737871, v54
	s_delay_alu instid0(VALU_DEP_2) | instskip(NEXT) | instid1(VALU_DEP_2)
	v_fmac_f32_e32 v96, 0x3f167918, v53
	v_dual_fmac_f32 v50, 0xbf167918, v53 :: v_dual_sub_f32 v53, v72, v70
	v_sub_f32_e32 v52, v70, v68
	v_fmac_f32_e32 v94, 0x3f167918, v54
	v_add_f32_e32 v58, v68, v48
	s_delay_alu instid0(VALU_DEP_3) | instskip(SKIP_1) | instid1(VALU_DEP_2)
	v_dual_sub_f32 v54, v73, v75 :: v_dual_add_f32 v49, v52, v49
	v_add_f32_e32 v52, v69, v75
	v_fmac_f32_e32 v96, 0x3e9e377a, v49
	v_fmac_f32_e32 v50, 0x3e9e377a, v49
	s_delay_alu instid0(VALU_DEP_3) | instskip(SKIP_2) | instid1(VALU_DEP_3)
	v_fma_f32 v70, -0.5, v52, v51
	v_dual_sub_f32 v49, v75, v73 :: v_dual_sub_f32 v52, v69, v71
	v_dual_fmac_f32 v94, 0x3e9e377a, v55 :: v_dual_sub_f32 v55, v71, v69
	v_fmamk_f32 v72, v53, 0x3f737871, v70
	v_fmac_f32_e32 v70, 0xbf737871, v53
	s_delay_alu instid0(VALU_DEP_4) | instskip(NEXT) | instid1(VALU_DEP_4)
	v_add_f32_e32 v49, v52, v49
	v_dual_add_f32 v48, v71, v73 :: v_dual_mul_f32 v59, 0x3f4f1bbd, v94
	v_add_f32_e32 v52, v55, v54
	v_sub_f32_e32 v55, v29, v58
	s_delay_alu instid0(VALU_DEP_3) | instskip(SKIP_1) | instid1(VALU_DEP_1)
	v_fma_f32 v95, -0.5, v48, v51
	v_sub_f32_e32 v48, v74, v68
	v_fmamk_f32 v68, v48, 0xbf737871, v95
	v_fmac_f32_e32 v95, 0x3f737871, v48
	s_delay_alu instid0(VALU_DEP_2) | instskip(NEXT) | instid1(VALU_DEP_2)
	v_fmac_f32_e32 v68, 0xbf167918, v53
	v_fmac_f32_e32 v95, 0x3f167918, v53
	v_mul_f32_e32 v53, 0x3f4f1bbd, v93
	s_delay_alu instid0(VALU_DEP_3) | instskip(NEXT) | instid1(VALU_DEP_3)
	v_fmac_f32_e32 v68, 0x3e9e377a, v49
	v_fmac_f32_e32 v95, 0x3e9e377a, v49
	;; [unrolled: 1-line block ×3, first 2 shown]
	s_delay_alu instid0(VALU_DEP_3) | instskip(NEXT) | instid1(VALU_DEP_3)
	v_fmac_f32_e32 v59, 0x3f167918, v68
	v_fma_f32 v77, 0x3f167918, v95, -v53
	s_delay_alu instid0(VALU_DEP_2) | instskip(SKIP_1) | instid1(VALU_DEP_3)
	v_dual_fmac_f32 v70, 0x3e9e377a, v52 :: v_dual_add_f32 v49, v56, v59
	v_sub_f32_e32 v56, v56, v59
	v_dual_sub_f32 v59, v0, v77 :: v_dual_fmac_f32 v72, 0xbf167918, v48
	v_dual_add_f32 v48, v58, v29 :: v_dual_add_f32 v29, v40, v78
	v_sub_f32_e32 v78, v39, v45
	v_add_f32_e32 v54, v0, v77
	s_delay_alu instid0(VALU_DEP_4) | instskip(SKIP_3) | instid1(VALU_DEP_3)
	v_dual_add_f32 v77, v32, v34 :: v_dual_fmac_f32 v72, 0x3e9e377a, v52
	v_mul_f32_e32 v52, 0x3e9e377a, v50
	v_dual_mul_f32 v74, 0x3e9e377a, v96 :: v_dual_add_f32 v29, v42, v29
	v_fmamk_f32 v80, v78, 0x3f737871, v82
	v_fma_f32 v76, 0x3f737871, v70, -v52
	s_delay_alu instid0(VALU_DEP_1) | instskip(SKIP_2) | instid1(VALU_DEP_1)
	v_dual_add_f32 v0, v44, v29 :: v_dual_add_f32 v53, v46, v76
	v_sub_f32_e32 v58, v46, v76
	v_sub_f32_e32 v76, v38, v40
	v_dual_add_f32 v46, v44, v38 :: v_dual_add_f32 v29, v79, v76
	v_dual_sub_f32 v79, v36, v34 :: v_dual_fmac_f32 v74, 0x3f737871, v72
	s_delay_alu instid0(VALU_DEP_1) | instskip(NEXT) | instid1(VALU_DEP_2)
	v_dual_sub_f32 v76, v42, v44 :: v_dual_add_f32 v79, v83, v79
	v_add_f32_e32 v52, v57, v74
	v_sub_f32_e32 v57, v57, v74
	v_sub_f32_e32 v74, v41, v43
	v_add_f32_e32 v83, v33, v35
	v_fmac_f32_e32 v17, -0.5, v46
	v_sub_f32_e32 v46, v40, v38
	s_delay_alu instid0(VALU_DEP_4) | instskip(NEXT) | instid1(VALU_DEP_4)
	v_fmac_f32_e32 v80, 0x3f167918, v74
	v_fma_f32 v99, -0.5, v83, v28
	s_delay_alu instid0(VALU_DEP_4) | instskip(NEXT) | instid1(VALU_DEP_4)
	v_dual_fmac_f32 v82, 0xbf737871, v78 :: v_dual_fmamk_f32 v81, v74, 0xbf737871, v17
	v_add_f32_e32 v76, v76, v46
	v_fmac_f32_e32 v17, 0x3f737871, v74
	v_fma_f32 v46, -0.5, v77, v27
	s_delay_alu instid0(VALU_DEP_4) | instskip(SKIP_1) | instid1(VALU_DEP_4)
	v_dual_sub_f32 v77, v37, v31 :: v_dual_fmac_f32 v82, 0xbf167918, v74
	v_fmac_f32_e32 v81, 0x3f167918, v78
	v_dual_fmac_f32 v17, 0xbf167918, v78 :: v_dual_sub_f32 v78, v35, v33
	s_delay_alu instid0(VALU_DEP_3) | instskip(SKIP_1) | instid1(VALU_DEP_4)
	v_fmamk_f32 v74, v77, 0x3f737871, v46
	v_dual_fmac_f32 v46, 0xbf737871, v77 :: v_dual_sub_f32 v83, v33, v31
	v_fmac_f32_e32 v81, 0x3e9e377a, v76
	s_delay_alu instid0(VALU_DEP_4) | instskip(NEXT) | instid1(VALU_DEP_4)
	v_fmac_f32_e32 v17, 0x3e9e377a, v76
	v_fmac_f32_e32 v74, 0x3f167918, v78
	s_delay_alu instid0(VALU_DEP_4) | instskip(SKIP_1) | instid1(VALU_DEP_3)
	v_fmac_f32_e32 v46, 0xbf167918, v78
	v_sub_f32_e32 v76, v34, v36
	v_fmac_f32_e32 v74, 0x3e9e377a, v79
	s_delay_alu instid0(VALU_DEP_3) | instskip(NEXT) | instid1(VALU_DEP_1)
	v_dual_fmac_f32 v46, 0x3e9e377a, v79 :: v_dual_sub_f32 v79, v32, v30
	v_add_f32_e32 v76, v79, v76
	v_fmac_f32_e32 v82, 0x3e9e377a, v29
	v_sub_f32_e32 v79, v31, v33
	v_dual_fmac_f32 v80, 0x3e9e377a, v29 :: v_dual_add_f32 v29, v36, v27
	v_dual_fmac_f32 v27, -0.5, v84 :: v_dual_sub_f32 v84, v21, v25
	s_delay_alu instid0(VALU_DEP_2) | instskip(NEXT) | instid1(VALU_DEP_2)
	v_add_f32_e32 v29, v34, v29
	v_fmamk_f32 v97, v78, 0xbf737871, v27
	v_fmac_f32_e32 v27, 0x3f737871, v78
	v_mul_u32_u24_e32 v78, 10, v92
	s_delay_alu instid0(VALU_DEP_4) | instskip(NEXT) | instid1(VALU_DEP_4)
	v_add_f32_e32 v29, v32, v29
	v_fmac_f32_e32 v97, 0x3f167918, v77
	s_delay_alu instid0(VALU_DEP_4) | instskip(NEXT) | instid1(VALU_DEP_4)
	v_fmac_f32_e32 v27, 0xbf167918, v77
	v_lshl_add_u32 v98, v78, 2, 0
	ds_store_2addr_b64 v98, v[48:49], v[52:53] offset1:1
	ds_store_2addr_b64 v98, v[54:55], v[56:57] offset0:2 offset1:3
	v_add_f32_e32 v48, v13, v11
	v_dual_add_f32 v78, v31, v37 :: v_dual_sub_f32 v77, v36, v30
	v_add_f32_e32 v29, v30, v29
	v_sub_f32_e32 v53, v12, v14
	s_delay_alu instid0(VALU_DEP_4) | instskip(SKIP_4) | instid1(VALU_DEP_4)
	v_fma_f32 v49, -0.5, v48, v5
	v_add_f32_e32 v48, v21, v23
	v_fma_f32 v100, -0.5, v78, v28
	v_dual_fmac_f32 v27, 0x3e9e377a, v76 :: v_dual_sub_f32 v36, v37, v35
	v_add_f32_e32 v56, v29, v0
	v_fma_f32 v103, -0.5, v48, v7
	v_dual_sub_f32 v32, v34, v32 :: v_dual_add_f32 v55, v25, v19
	s_delay_alu instid0(VALU_DEP_4) | instskip(SKIP_2) | instid1(VALU_DEP_4)
	v_dual_add_f32 v78, v79, v36 :: v_dual_sub_f32 v79, v0, v29
	v_sub_f32_e32 v0, v10, v16
	v_sub_f32_e32 v34, v35, v37
	v_fmamk_f32 v36, v32, 0x3f737871, v100
	v_dual_fmac_f32 v100, 0xbf737871, v32 :: v_dual_fmamk_f32 v101, v77, 0xbf737871, v99
	s_delay_alu instid0(VALU_DEP_4) | instskip(NEXT) | instid1(VALU_DEP_4)
	v_fmamk_f32 v52, v0, 0x3f737871, v49
	v_dual_fmac_f32 v49, 0xbf737871, v0 :: v_dual_add_f32 v30, v83, v34
	s_delay_alu instid0(VALU_DEP_4) | instskip(NEXT) | instid1(VALU_DEP_4)
	v_fmac_f32_e32 v36, 0xbf167918, v77
	v_fmac_f32_e32 v100, 0x3f167918, v77
	;; [unrolled: 1-line block ×7, first 2 shown]
	v_mul_f32_e32 v30, 0x3e9e377a, v27
	v_fmac_f32_e32 v99, 0x3f167918, v32
	v_dual_mul_f32 v34, 0x3e9e377a, v97 :: v_dual_sub_f32 v29, v9, v11
	v_fmac_f32_e32 v52, 0x3f167918, v53
	s_delay_alu instid0(VALU_DEP_4) | instskip(NEXT) | instid1(VALU_DEP_4)
	v_fma_f32 v30, 0x3f737871, v100, -v30
	v_fmac_f32_e32 v99, 0x3e9e377a, v78
	s_delay_alu instid0(VALU_DEP_4) | instskip(SKIP_1) | instid1(VALU_DEP_4)
	v_fmac_f32_e32 v34, 0x3f737871, v36
	v_dual_sub_f32 v48, v25, v21 :: v_dual_fmac_f32 v101, 0xbf167918, v32
	v_add_f32_e32 v77, v17, v30
	v_mul_f32_e32 v76, 0x3f4f1bbd, v46
	v_mul_f32_e32 v32, 0x3f4f1bbd, v74
	s_delay_alu instid0(VALU_DEP_2) | instskip(SKIP_2) | instid1(VALU_DEP_3)
	v_fma_f32 v54, 0x3f167918, v99, -v76
	v_add_f32_e32 v76, v81, v34
	v_dual_sub_f32 v81, v81, v34 :: v_dual_sub_f32 v34, v15, v13
	v_sub_f32_e32 v83, v82, v54
	s_delay_alu instid0(VALU_DEP_2) | instskip(SKIP_1) | instid1(VALU_DEP_2)
	v_dual_add_f32 v29, v34, v29 :: v_dual_sub_f32 v34, v19, v23
	v_fmac_f32_e32 v101, 0x3e9e377a, v78
	v_fmac_f32_e32 v49, 0x3e9e377a, v29
	;; [unrolled: 1-line block ×3, first 2 shown]
	s_delay_alu instid0(VALU_DEP_4) | instskip(SKIP_2) | instid1(VALU_DEP_2)
	v_dual_add_f32 v34, v48, v34 :: v_dual_add_f32 v29, v19, v7
	v_dual_fmac_f32 v7, -0.5, v55 :: v_dual_add_f32 v48, v22, v24
	v_dual_sub_f32 v55, v23, v19 :: v_dual_fmac_f32 v32, 0x3f167918, v101
	v_fma_f32 v105, -0.5, v48, v8
	s_delay_alu instid0(VALU_DEP_2)
	v_dual_sub_f32 v48, v19, v25 :: v_dual_add_f32 v19, v84, v55
	v_dual_sub_f32 v55, v26, v22 :: v_dual_sub_f32 v84, v23, v21
	v_add_f32_e32 v78, v82, v54
	v_sub_f32_e32 v82, v17, v30
	v_sub_f32_e32 v30, v20, v26
	;; [unrolled: 1-line block ×3, first 2 shown]
	v_fmamk_f32 v106, v48, 0xbf737871, v105
	v_fmac_f32_e32 v105, 0x3f737871, v48
	s_delay_alu instid0(VALU_DEP_4) | instskip(SKIP_1) | instid1(VALU_DEP_4)
	v_dual_add_f32 v57, v80, v32 :: v_dual_fmamk_f32 v104, v30, 0x3f737871, v103
	v_fmac_f32_e32 v103, 0xbf737871, v30
	v_fmac_f32_e32 v106, 0xbf167918, v84
	s_delay_alu instid0(VALU_DEP_4)
	v_fmac_f32_e32 v105, 0x3f167918, v84
	v_sub_f32_e32 v80, v80, v32
	v_fmac_f32_e32 v104, 0x3f167918, v54
	v_fmac_f32_e32 v103, 0xbf167918, v54
	v_dual_add_f32 v23, v23, v29 :: v_dual_add_nc_u32 v32, 0xe10, v98
	v_add_nc_u32_e32 v17, 0xe20, v98
	s_delay_alu instid0(VALU_DEP_4) | instskip(NEXT) | instid1(VALU_DEP_4)
	v_fmac_f32_e32 v104, 0x3e9e377a, v34
	v_fmac_f32_e32 v103, 0x3e9e377a, v34
	s_delay_alu instid0(VALU_DEP_4) | instskip(SKIP_1) | instid1(VALU_DEP_2)
	v_dual_add_f32 v23, v21, v23 :: v_dual_fmamk_f32 v34, v54, 0xbf737871, v7
	v_dual_fmac_f32 v7, 0x3f737871, v54 :: v_dual_sub_f32 v54, v20, v24
	v_dual_add_f32 v23, v25, v23 :: v_dual_fmac_f32 v34, 0x3f167918, v30
	s_delay_alu instid0(VALU_DEP_2) | instskip(NEXT) | instid1(VALU_DEP_3)
	v_fmac_f32_e32 v7, 0xbf167918, v30
	v_add_f32_e32 v30, v55, v54
	v_add_f32_e32 v54, v26, v20
	s_delay_alu instid0(VALU_DEP_4) | instskip(NEXT) | instid1(VALU_DEP_3)
	v_dual_sub_f32 v55, v22, v26 :: v_dual_fmac_f32 v34, 0x3e9e377a, v19
	v_dual_fmac_f32 v7, 0x3e9e377a, v19 :: v_dual_fmac_f32 v106, 0x3e9e377a, v30
	s_delay_alu instid0(VALU_DEP_3) | instskip(SKIP_2) | instid1(VALU_DEP_3)
	v_fma_f32 v19, -0.5, v54, v8
	v_dual_add_f32 v54, v9, v5 :: v_dual_fmac_f32 v105, 0x3e9e377a, v30
	v_sub_f32_e32 v30, v24, v20
	v_fmamk_f32 v102, v84, 0x3f737871, v19
	s_delay_alu instid0(VALU_DEP_3) | instskip(NEXT) | instid1(VALU_DEP_3)
	v_dual_add_f32 v54, v11, v54 :: v_dual_fmac_f32 v19, 0xbf737871, v84
	v_add_f32_e32 v29, v55, v30
	v_mul_f32_e32 v55, 0x3f4f1bbd, v103
	s_delay_alu instid0(VALU_DEP_4) | instskip(NEXT) | instid1(VALU_DEP_4)
	v_fmac_f32_e32 v102, 0xbf167918, v48
	v_add_f32_e32 v30, v13, v54
	v_mul_f32_e32 v54, 0x3f4f1bbd, v104
	v_fmac_f32_e32 v19, 0x3f167918, v48
	v_fma_f32 v55, 0x3f167918, v105, -v55
	s_delay_alu instid0(VALU_DEP_4) | instskip(NEXT) | instid1(VALU_DEP_4)
	v_dual_fmac_f32 v102, 0x3e9e377a, v29 :: v_dual_add_f32 v21, v15, v30
	v_fmac_f32_e32 v54, 0x3f167918, v106
	s_delay_alu instid0(VALU_DEP_4) | instskip(NEXT) | instid1(VALU_DEP_4)
	v_fmac_f32_e32 v19, 0x3e9e377a, v29
	v_add_f32_e32 v29, v49, v55
	ds_store_2addr_b64 v32, v[56:57], v[76:77] offset1:1
	ds_store_2addr_b64 v17, v[78:79], v[80:81] offset1:1
	ds_store_b64 v98, v[58:59] offset:32
	ds_store_b64 v98, v[82:83] offset:3632
	v_sub_f32_e32 v30, v21, v23
	v_sub_f32_e32 v48, v52, v54
	s_and_saveexec_b32 s0, s1
	s_cbranch_execz .LBB0_17
; %bb.16:
	v_dual_add_f32 v25, v15, v9 :: v_dual_sub_f32 v56, v13, v15
	s_delay_alu instid0(VALU_DEP_1) | instskip(NEXT) | instid1(VALU_DEP_1)
	v_fmac_f32_e32 v5, -0.5, v25
	v_dual_sub_f32 v25, v11, v9 :: v_dual_fmamk_f32 v58, v53, 0x3f737871, v5
	s_delay_alu instid0(VALU_DEP_1) | instskip(NEXT) | instid1(VALU_DEP_1)
	v_dual_add_f32 v25, v56, v25 :: v_dual_fmac_f32 v58, 0xbf167918, v0
	v_dual_mul_f32 v59, 0x3e9e377a, v34 :: v_dual_fmac_f32 v58, 0x3e9e377a, v25
	v_fmac_f32_e32 v5, 0xbf737871, v53
	v_sub_f32_e32 v53, v49, v55
	v_mul_f32_e32 v49, 0x3e9e377a, v7
	s_delay_alu instid0(VALU_DEP_4) | instskip(SKIP_2) | instid1(VALU_DEP_4)
	v_fmac_f32_e32 v59, 0x3f737871, v102
	v_dual_add_f32 v55, v52, v54 :: v_dual_add_f32 v54, v23, v21
	v_fmac_f32_e32 v5, 0x3f167918, v0
	v_fma_f32 v0, 0x3f737871, v19, -v49
	v_add_nc_u32_e32 v23, 0x1c30, v98
	v_add_nc_u32_e32 v21, 0x1c20, v98
	s_delay_alu instid0(VALU_DEP_4) | instskip(NEXT) | instid1(VALU_DEP_4)
	v_fmac_f32_e32 v5, 0x3e9e377a, v25
	v_add_f32_e32 v57, v58, v0
	s_delay_alu instid0(VALU_DEP_2)
	v_dual_sub_f32 v52, v58, v0 :: v_dual_sub_f32 v49, v5, v59
	v_add_f32_e32 v56, v5, v59
	ds_store_2addr_b64 v23, v[29:30], v[48:49] offset1:1
	ds_store_2addr_b64 v21, v[54:55], v[56:57] offset1:1
	ds_store_b64 v98, v[52:53] offset:7232
.LBB0_17:
	s_wait_alu 0xfffe
	s_or_b32 exec_lo, exec_lo, s0
	v_mad_i32_i24 v0, 0xffffffdc, v92, v98
	global_wb scope:SCOPE_SE
	s_wait_dscnt 0x0
	s_wait_kmcnt 0x0
	s_barrier_signal -1
	s_barrier_wait -1
	global_inv scope:SCOPE_SE
	v_add_nc_u32_e32 v5, 0xa00, v0
	v_add_nc_u32_e32 v21, 0x1600, v0
	;; [unrolled: 1-line block ×5, first 2 shown]
	ds_load_2addr_b32 v[90:91], v5 offset0:110 offset1:200
	v_add_nc_u32_e32 v5, 0x1800, v0
	ds_load_2addr_b32 v[52:53], v0 offset1:90
	ds_load_2addr_b32 v[88:89], v21 offset0:92 offset1:182
	ds_load_2addr_b32 v[56:57], v23 offset0:52 offset1:142
	;; [unrolled: 1-line block ×5, first 2 shown]
	v_add_nc_u32_e32 v5, 0x1000, v0
	v_add_nc_u32_e32 v21, 0x1c00, v0
	v_add_nc_u32_e32 v23, 0x800, v0
	v_add_nc_u32_e32 v25, 0x1400, v0
	v_add_nc_u32_e32 v49, 0x1e00, v0
	ds_load_2addr_b32 v[82:83], v5 offset0:86 offset1:176
	ds_load_2addr_b32 v[80:81], v21 offset0:68 offset1:158
	;; [unrolled: 1-line block ×5, first 2 shown]
	v_cmp_gt_u32_e64 s0, 30, v92
	s_delay_alu instid0(VALU_DEP_1)
	s_and_saveexec_b32 s4, s0
	s_cbranch_execz .LBB0_19
; %bb.18:
	ds_load_b32 v29, v0 offset:2880
	ds_load_b32 v30, v0 offset:5880
	;; [unrolled: 1-line block ×3, first 2 shown]
.LBB0_19:
	s_wait_alu 0xfffe
	s_or_b32 exec_lo, exec_lo, s4
	v_dual_add_f32 v21, v61, v67 :: v_dual_sub_f32 v60, v66, v60
	v_add_f32_e32 v5, v65, v47
	v_dual_sub_f32 v23, v64, v62 :: v_dual_add_f32 v62, v63, v65
	s_delay_alu instid0(VALU_DEP_3)
	v_fma_f32 v21, -0.5, v21, v47
	v_sub_f32_e32 v25, v65, v67
	v_sub_f32_e32 v49, v63, v61
	;; [unrolled: 1-line block ×3, first 2 shown]
	v_dual_fmac_f32 v47, -0.5, v62 :: v_dual_sub_f32 v62, v67, v65
	v_add_f32_e32 v5, v67, v5
	s_delay_alu instid0(VALU_DEP_4) | instskip(SKIP_2) | instid1(VALU_DEP_3)
	v_dual_fmamk_f32 v66, v23, 0xbf737871, v21 :: v_dual_add_f32 v25, v49, v25
	v_mul_f32_e32 v67, 0xbf737871, v96
	v_sub_f32_e32 v11, v10, v12
	v_dual_add_f32 v5, v61, v5 :: v_dual_fmac_f32 v66, 0xbf167918, v60
	v_fmac_f32_e32 v21, 0x3f737871, v23
	v_add_f32_e32 v49, v75, v51
	v_fmamk_f32 v51, v60, 0x3f737871, v47
	v_sub_f32_e32 v61, v61, v63
	v_fmac_f32_e32 v47, 0xbf737871, v60
	v_fmac_f32_e32 v21, 0x3f167918, v60
	s_delay_alu instid0(VALU_DEP_4) | instskip(NEXT) | instid1(VALU_DEP_4)
	v_dual_sub_f32 v38, v38, v44 :: v_dual_fmac_f32 v51, 0xbf167918, v23
	v_add_f32_e32 v60, v61, v62
	v_dual_mul_f32 v62, 0x3f4f1bbd, v95 :: v_dual_add_f32 v5, v63, v5
	v_add_f32_e32 v44, v45, v39
	v_fmac_f32_e32 v47, 0x3f167918, v23
	v_mul_f32_e32 v23, 0xbf167918, v94
	v_dual_fmac_f32 v66, 0x3e9e377a, v25 :: v_dual_fmac_f32 v51, 0x3e9e377a, v60
	v_fmac_f32_e32 v67, 0x3e9e377a, v72
	v_add_f32_e32 v49, v73, v49
	v_dual_fmac_f32 v47, 0x3e9e377a, v60 :: v_dual_mul_f32 v60, 0x3e9e377a, v70
	v_fmac_f32_e32 v23, 0x3f4f1bbd, v68
	v_add_f32_e32 v63, v43, v41
	v_fma_f32 v68, 0xbf167918, v93, -v62
	global_wb scope:SCOPE_SE
	s_wait_dscnt 0x0
	v_fma_f32 v60, 0xbf737871, v50, -v60
	v_dual_add_f32 v50, v66, v23 :: v_dual_fmac_f32 v21, 0x3e9e377a, v25
	v_sub_f32_e32 v65, v66, v23
	v_sub_f32_e32 v66, v51, v67
	v_add_f32_e32 v49, v71, v49
	v_fma_f32 v70, -0.5, v63, v18
	v_add_f32_e32 v63, v21, v68
	v_sub_f32_e32 v68, v21, v68
	s_delay_alu instid0(VALU_DEP_4) | instskip(NEXT) | instid1(VALU_DEP_4)
	v_dual_add_f32 v8, v20, v8 :: v_dual_add_f32 v25, v69, v49
	v_fmamk_f32 v23, v38, 0xbf737871, v70
	v_dual_fmac_f32 v70, 0x3f737871, v38 :: v_dual_sub_f32 v21, v41, v39
	s_delay_alu instid0(VALU_DEP_3) | instskip(SKIP_2) | instid1(VALU_DEP_3)
	v_dual_add_f32 v8, v24, v8 :: v_dual_add_f32 v49, v25, v5
	v_dual_sub_f32 v64, v5, v25 :: v_dual_sub_f32 v25, v40, v42
	v_sub_f32_e32 v40, v39, v41
	v_add_f32_e32 v8, v22, v8
	v_sub_f32_e32 v42, v45, v43
	s_delay_alu instid0(VALU_DEP_4) | instskip(SKIP_1) | instid1(VALU_DEP_3)
	v_dual_sub_f32 v20, v16, v14 :: v_dual_fmac_f32 v23, 0xbf167918, v25
	s_barrier_signal -1
	v_add_f32_e32 v24, v26, v8
	s_delay_alu instid0(VALU_DEP_3)
	v_dual_add_f32 v40, v42, v40 :: v_dual_add_f32 v69, v39, v18
	v_fmac_f32_e32 v18, -0.5, v44
	v_fmac_f32_e32 v70, 0x3f167918, v25
	s_barrier_wait -1
	global_inv scope:SCOPE_SE
	v_add_f32_e32 v5, v41, v69
	v_fmamk_f32 v44, v25, 0x3f737871, v18
	v_fmac_f32_e32 v18, 0xbf737871, v25
	v_mul_f32_e32 v25, 0xbf167918, v74
	s_delay_alu instid0(VALU_DEP_4) | instskip(NEXT) | instid1(VALU_DEP_4)
	v_dual_fmac_f32 v70, 0x3e9e377a, v40 :: v_dual_add_f32 v5, v43, v5
	v_fmac_f32_e32 v44, 0xbf167918, v38
	s_delay_alu instid0(VALU_DEP_4) | instskip(NEXT) | instid1(VALU_DEP_4)
	v_fmac_f32_e32 v18, 0x3f167918, v38
	v_fmac_f32_e32 v25, 0x3f4f1bbd, v101
	s_delay_alu instid0(VALU_DEP_4) | instskip(SKIP_1) | instid1(VALU_DEP_1)
	v_add_f32_e32 v42, v45, v5
	v_dual_add_f32 v5, v37, v28 :: v_dual_sub_f32 v28, v43, v45
	v_add_f32_e32 v5, v35, v5
	s_delay_alu instid0(VALU_DEP_2) | instskip(NEXT) | instid1(VALU_DEP_2)
	v_add_f32_e32 v21, v28, v21
	v_add_f32_e32 v5, v33, v5
	s_delay_alu instid0(VALU_DEP_2)
	v_fmac_f32_e32 v44, 0x3e9e377a, v21
	v_fmac_f32_e32 v18, 0x3e9e377a, v21
	v_mul_f32_e32 v21, 0x3f4f1bbd, v99
	v_add_f32_e32 v61, v51, v67
	v_add_f32_e32 v31, v31, v5
	v_mul_f32_e32 v5, 0x3e9e377a, v100
	v_mul_f32_e32 v33, 0xbf737871, v97
	v_fma_f32 v43, 0xbf167918, v46, -v21
	v_add_f32_e32 v21, v14, v12
	v_fmac_f32_e32 v23, 0x3e9e377a, v40
	v_fma_f32 v41, 0xbf737871, v27, -v5
	v_add_f32_e32 v5, v10, v6
	v_dual_sub_f32 v26, v70, v43 :: v_dual_fmac_f32 v33, 0x3e9e377a, v36
	s_delay_alu instid0(VALU_DEP_4) | instskip(SKIP_1) | instid1(VALU_DEP_4)
	v_add_f32_e32 v38, v23, v25
	v_sub_f32_e32 v39, v23, v25
	v_add_f32_e32 v45, v12, v5
	v_fma_f32 v5, -0.5, v21, v6
	v_dual_sub_f32 v21, v9, v15 :: v_dual_add_f32 v62, v47, v60
	v_add_f32_e32 v37, v31, v42
	s_delay_alu instid0(VALU_DEP_4) | instskip(SKIP_1) | instid1(VALU_DEP_4)
	v_add_f32_e32 v9, v14, v45
	v_add_f32_e32 v27, v44, v33
	v_fmamk_f32 v15, v21, 0xbf737871, v5
	v_fmac_f32_e32 v5, 0x3f737871, v21
	v_add_f32_e32 v28, v18, v41
	v_add_f32_e32 v23, v16, v9
	;; [unrolled: 1-line block ×3, first 2 shown]
	v_fmac_f32_e32 v15, 0xbf167918, v13
	v_fmac_f32_e32 v5, 0x3f167918, v13
	v_mul_f32_e32 v11, 0x3f4f1bbd, v105
	v_mul_f32_e32 v20, 0xbf167918, v104
	v_sub_f32_e32 v67, v47, v60
	v_fmac_f32_e32 v15, 0x3e9e377a, v9
	v_fmac_f32_e32 v5, 0x3e9e377a, v9
	v_fma_f32 v22, 0xbf167918, v103, -v11
	v_dual_fmac_f32 v20, 0x3f4f1bbd, v106 :: v_dual_sub_f32 v9, v23, v24
	v_dual_add_f32 v35, v70, v43 :: v_dual_add_nc_u32 v60, 0xb4, v92
	s_delay_alu instid0(VALU_DEP_2)
	v_dual_add_f32 v8, v5, v22 :: v_dual_sub_f32 v11, v15, v20
	v_sub_f32_e32 v36, v42, v31
	v_sub_f32_e32 v40, v44, v33
	;; [unrolled: 1-line block ×3, first 2 shown]
	ds_store_2addr_b64 v98, v[49:50], v[61:62] offset1:1
	ds_store_2addr_b64 v98, v[63:64], v[65:66] offset0:2 offset1:3
	ds_store_2addr_b64 v32, v[37:38], v[27:28] offset1:1
	ds_store_2addr_b64 v17, v[35:36], v[39:40] offset1:1
	ds_store_b64 v98, v[67:68] offset:32
	ds_store_b64 v98, v[25:26] offset:3632
	s_and_saveexec_b32 s4, s1
	s_cbranch_execz .LBB0_21
; %bb.20:
	v_add_f32_e32 v17, v16, v10
	v_dual_sub_f32 v10, v12, v10 :: v_dual_add_f32 v15, v15, v20
	v_sub_f32_e32 v12, v14, v16
	v_mul_f32_e32 v16, 0x3e9e377a, v19
	s_delay_alu instid0(VALU_DEP_4) | instskip(NEXT) | instid1(VALU_DEP_3)
	v_fmac_f32_e32 v6, -0.5, v17
	v_add_f32_e32 v10, v12, v10
	s_delay_alu instid0(VALU_DEP_3) | instskip(NEXT) | instid1(VALU_DEP_3)
	v_fma_f32 v19, 0xbf737871, v7, -v16
	v_fmamk_f32 v18, v13, 0x3f737871, v6
	v_dual_fmac_f32 v6, 0xbf737871, v13 :: v_dual_sub_f32 v7, v5, v22
	v_dual_mul_f32 v13, 0xbf737871, v34 :: v_dual_add_f32 v14, v24, v23
	v_mul_u32_u24_e32 v12, 10, v60
	s_delay_alu instid0(VALU_DEP_3) | instskip(NEXT) | instid1(VALU_DEP_3)
	v_fmac_f32_e32 v6, 0x3f167918, v21
	v_fmac_f32_e32 v13, 0x3e9e377a, v102
	s_delay_alu instid0(VALU_DEP_3) | instskip(NEXT) | instid1(VALU_DEP_3)
	v_lshl_add_u32 v5, v12, 2, 0
	v_fmac_f32_e32 v6, 0x3e9e377a, v10
	s_delay_alu instid0(VALU_DEP_1) | instskip(SKIP_1) | instid1(VALU_DEP_2)
	v_dual_add_f32 v17, v6, v19 :: v_dual_fmac_f32 v18, 0xbf167918, v21
	v_sub_f32_e32 v6, v6, v19
	v_fmac_f32_e32 v18, 0x3e9e377a, v10
	s_delay_alu instid0(VALU_DEP_1)
	v_add_f32_e32 v16, v18, v13
	v_sub_f32_e32 v12, v18, v13
	ds_store_2addr_b64 v5, v[14:15], v[16:17] offset1:1
	ds_store_2addr_b64 v5, v[8:9], v[11:12] offset0:2 offset1:3
	ds_store_b64 v5, v[6:7] offset:32
.LBB0_21:
	s_wait_alu 0xfffe
	s_or_b32 exec_lo, exec_lo, s4
	v_add_nc_u32_e32 v7, 0xa00, v0
	global_wb scope:SCOPE_SE
	s_wait_dscnt 0x0
	s_barrier_signal -1
	s_barrier_wait -1
	global_inv scope:SCOPE_SE
	ds_load_2addr_b32 v[5:6], v0 offset1:90
	ds_load_2addr_b32 v[35:36], v7 offset0:110 offset1:200
	v_add_nc_u32_e32 v7, 0x1600, v0
	v_add_nc_u32_e32 v10, 0x200, v0
	;; [unrolled: 1-line block ×5, first 2 shown]
	ds_load_2addr_b32 v[33:34], v7 offset0:92 offset1:182
	ds_load_2addr_b32 v[16:17], v10 offset0:52 offset1:142
	;; [unrolled: 1-line block ×5, first 2 shown]
	v_add_nc_u32_e32 v7, 0x1000, v0
	v_add_nc_u32_e32 v10, 0x1c00, v0
	;; [unrolled: 1-line block ×5, first 2 shown]
	ds_load_2addr_b32 v[24:25], v7 offset0:86 offset1:176
	ds_load_2addr_b32 v[22:23], v10 offset0:68 offset1:158
	ds_load_2addr_b32 v[18:19], v12 offset0:28 offset1:118
	ds_load_2addr_b32 v[20:21], v13 offset0:10 offset1:100
	ds_load_2addr_b32 v[12:13], v28 offset0:120 offset1:210
	s_and_saveexec_b32 s1, s0
	s_cbranch_execz .LBB0_23
; %bb.22:
	ds_load_b32 v8, v0 offset:2880
	ds_load_b32 v9, v0 offset:5880
	;; [unrolled: 1-line block ×3, first 2 shown]
.LBB0_23:
	s_wait_alu 0xfffe
	s_or_b32 exec_lo, exec_lo, s1
	v_add_nc_u32_e32 v61, 0x5a, v92
	v_and_b32_e32 v50, 0xff, v92
	v_add_nc_u32_e32 v62, 0x10e, v92
	v_and_b32_e32 v39, 0xffff, v60
	s_delay_alu instid0(VALU_DEP_4) | instskip(NEXT) | instid1(VALU_DEP_4)
	v_and_b32_e32 v49, 0xff, v61
	v_mul_lo_u16 v7, 0xcd, v50
	s_delay_alu instid0(VALU_DEP_4) | instskip(NEXT) | instid1(VALU_DEP_4)
	v_and_b32_e32 v38, 0xffff, v62
	v_mul_u32_u24_e32 v28, 0xcccd, v39
	s_delay_alu instid0(VALU_DEP_4) | instskip(NEXT) | instid1(VALU_DEP_4)
	v_mul_lo_u16 v10, 0xcd, v49
	v_lshrrev_b16 v44, 11, v7
	s_delay_alu instid0(VALU_DEP_4) | instskip(NEXT) | instid1(VALU_DEP_4)
	v_mul_u32_u24_e32 v37, 0xcccd, v38
	v_lshrrev_b32_e32 v28, 19, v28
	s_delay_alu instid0(VALU_DEP_4) | instskip(NEXT) | instid1(VALU_DEP_4)
	v_lshrrev_b16 v10, 11, v10
	v_mul_lo_u16 v40, v44, 10
	s_delay_alu instid0(VALU_DEP_4) | instskip(NEXT) | instid1(VALU_DEP_4)
	v_lshrrev_b32_e32 v37, 19, v37
	v_mul_lo_u16 v42, v28, 10
	v_mul_u32_u24_e32 v28, 0x78, v28
	v_mul_lo_u16 v41, v10, 10
	v_sub_nc_u16 v40, v92, v40
	v_mul_lo_u16 v43, v37, 10
	v_sub_nc_u16 v42, v60, v42
	v_mul_u32_u24_e32 v37, 0x78, v37
	v_sub_nc_u16 v41, v61, v41
	v_and_b32_e32 v46, 0xff, v40
	v_sub_nc_u16 v43, v62, v43
	v_and_b32_e32 v68, 0xffff, v42
	v_and_b32_e32 v10, 0xffff, v10
	;; [unrolled: 1-line block ×3, first 2 shown]
	v_lshlrev_b32_e32 v40, 4, v46
	v_and_b32_e32 v71, 0xffff, v43
	v_lshlrev_b32_e32 v70, 4, v68
	v_mul_u32_u24_e32 v10, 0x78, v10
	v_lshlrev_b32_e32 v69, 4, v47
	s_clause 0x1
	global_load_b128 v[40:43], v40, s[8:9]
	global_load_b128 v[94:97], v69, s[8:9]
	v_add_nc_u32_e32 v63, 0x168, v92
	global_load_b128 v[98:101], v70, s[8:9]
	v_lshlrev_b32_e32 v72, 4, v71
	v_add_nc_u32_e32 v67, 0x2d0, v92
	v_add_nc_u32_e32 v64, 0x1c2, v92
	v_and_b32_e32 v7, 0xffff, v63
	global_load_b128 v[102:105], v72, s[8:9]
	v_add_nc_u32_e32 v65, 0x21c, v92
	v_and_b32_e32 v74, 0xffff, v67
	v_mul_u32_u24_e32 v51, 0xcccd, v7
	s_delay_alu instid0(VALU_DEP_3) | instskip(NEXT) | instid1(VALU_DEP_3)
	v_and_b32_e32 v69, 0xffff, v65
	v_mul_u32_u24_e32 v74, 0xcccd, v74
	s_delay_alu instid0(VALU_DEP_3) | instskip(NEXT) | instid1(VALU_DEP_3)
	v_lshrrev_b32_e32 v51, 19, v51
	v_mul_u32_u24_e32 v69, 0xcccd, v69
	s_delay_alu instid0(VALU_DEP_3) | instskip(NEXT) | instid1(VALU_DEP_3)
	v_lshrrev_b32_e32 v74, 19, v74
	v_mul_lo_u16 v70, v51, 10
	v_mul_u32_u24_e32 v128, 0x78, v51
	s_delay_alu instid0(VALU_DEP_4) | instskip(NEXT) | instid1(VALU_DEP_4)
	v_lshrrev_b32_e32 v69, 19, v69
	v_mul_lo_u16 v51, v74, 30
	s_delay_alu instid0(VALU_DEP_4) | instskip(NEXT) | instid1(VALU_DEP_3)
	v_sub_nc_u16 v70, v63, v70
	v_mul_u32_u24_e32 v129, 0x78, v69
	s_delay_alu instid0(VALU_DEP_2) | instskip(SKIP_1) | instid1(VALU_DEP_2)
	v_and_b32_e32 v75, 0xffff, v70
	v_mul_lo_u16 v70, v69, 10
	v_lshlrev_b32_e32 v106, 4, v75
	s_delay_alu instid0(VALU_DEP_2) | instskip(SKIP_3) | instid1(VALU_DEP_2)
	v_sub_nc_u16 v70, v65, v70
	global_load_b128 v[106:109], v106, s[8:9]
	v_and_b32_e32 v126, 0xffff, v70
	v_mul_lo_u16 v70, v74, 10
	v_lshlrev_b32_e32 v114, 4, v126
	s_delay_alu instid0(VALU_DEP_2) | instskip(SKIP_2) | instid1(VALU_DEP_1)
	v_sub_nc_u16 v70, v67, v70
	global_load_b128 v[114:117], v114, s[8:9]
	v_and_b32_e32 v127, 0xffff, v70
	v_lshlrev_b32_e32 v70, 4, v127
	global_load_b128 v[122:125], v70, s[8:9]
	v_and_b32_e32 v44, 0xffff, v44
	v_lshlrev_b32_e32 v68, 2, v68
	v_lshlrev_b32_e32 v46, 2, v46
	s_delay_alu instid0(VALU_DEP_3) | instskip(NEXT) | instid1(VALU_DEP_3)
	v_mul_u32_u24_e32 v44, 0x78, v44
	v_add3_u32 v69, 0, v28, v68
	v_lshlrev_b32_e32 v28, 2, v71
	v_lshlrev_b32_e32 v71, 2, v126
	s_delay_alu instid0(VALU_DEP_4) | instskip(SKIP_1) | instid1(VALU_DEP_4)
	v_add3_u32 v70, 0, v44, v46
	v_lshlrev_b32_e32 v46, 2, v75
	v_add3_u32 v75, 0, v37, v28
	v_lshlrev_b32_e32 v44, 2, v47
	s_delay_alu instid0(VALU_DEP_3)
	v_add3_u32 v74, 0, v128, v46
	s_wait_loadcnt 0x6
	v_dual_mul_f32 v37, v88, v43 :: v_dual_add_nc_u32 v66, 0x276, v92
	v_mul_f32_e32 v46, v90, v41
	s_wait_loadcnt 0x4
	v_dual_mul_f32 v28, v86, v99 :: v_dual_and_b32 v45, 0xffff, v64
	s_wait_dscnt 0x9
	v_fmac_f32_e32 v37, v33, v42
	v_dual_fmac_f32 v46, v35, v40 :: v_dual_and_b32 v73, 0xffff, v66
	s_wait_dscnt 0x7
	v_fmac_f32_e32 v28, v31, v98
	v_mul_u32_u24_e32 v45, 0xcccd, v45
	s_delay_alu instid0(VALU_DEP_3) | instskip(NEXT) | instid1(VALU_DEP_2)
	v_mul_u32_u24_e32 v73, 0xcccd, v73
	v_lshrrev_b32_e32 v45, 19, v45
	s_delay_alu instid0(VALU_DEP_2) | instskip(NEXT) | instid1(VALU_DEP_2)
	v_lshrrev_b32_e32 v73, 19, v73
	v_mul_lo_u16 v72, v45, 10
	v_mul_u32_u24_e32 v45, 0x78, v45
	s_delay_alu instid0(VALU_DEP_3) | instskip(SKIP_1) | instid1(VALU_DEP_4)
	v_mul_lo_u16 v93, v73, 10
	v_mul_u32_u24_e32 v130, 0x78, v73
	v_sub_nc_u16 v72, v64, v72
	s_delay_alu instid0(VALU_DEP_3) | instskip(NEXT) | instid1(VALU_DEP_2)
	v_sub_nc_u16 v93, v66, v93
	v_and_b32_e32 v72, 0xffff, v72
	s_delay_alu instid0(VALU_DEP_2) | instskip(NEXT) | instid1(VALU_DEP_1)
	v_and_b32_e32 v93, 0xffff, v93
	v_lshlrev_b32_e32 v118, 4, v93
	v_lshlrev_b32_e32 v126, 2, v93
	v_add3_u32 v93, 0, v10, v44
	v_dual_mul_f32 v44, v35, v41 :: v_dual_mul_f32 v41, v33, v43
	v_mul_f32_e32 v43, v31, v99
	global_load_b128 v[118:121], v118, s[8:9]
	v_mul_f32_e32 v10, v84, v101
	v_fma_f32 v90, v90, v40, -v44
	v_fma_f32 v88, v88, v42, -v41
	v_mul_f32_e32 v41, v36, v95
	v_fma_f32 v33, v86, v98, -v43
	v_mul_f32_e32 v42, v34, v97
	v_mul_f32_e32 v44, v89, v97
	s_wait_loadcnt 0x4
	v_mul_f32_e32 v40, v87, v103
	v_fma_f32 v86, v91, v94, -v41
	s_wait_loadcnt 0x3
	v_dual_mul_f32 v41, v82, v107 :: v_dual_lshlrev_b32 v110, 4, v72
	v_fma_f32 v89, v89, v96, -v42
	v_fmac_f32_e32 v44, v34, v96
	s_wait_dscnt 0x4
	v_dual_fmac_f32 v10, v26, v100 :: v_dual_mul_f32 v97, v24, v107
	global_load_b128 v[110:113], v110, s[8:9]
	v_lshlrev_b32_e32 v47, 2, v72
	v_dual_fmac_f32 v41, v24, v106 :: v_dual_lshlrev_b32 v68, 2, v127
	global_wb scope:SCOPE_SE
	s_wait_loadcnt_dscnt 0x0
	s_barrier_signal -1
	s_barrier_wait -1
	global_inv scope:SCOPE_SE
	v_mul_f32_e32 v43, v78, v115
	v_mul_f32_e32 v31, v76, v117
	v_mul_f32_e32 v99, v20, v115
	s_delay_alu instid0(VALU_DEP_3) | instskip(NEXT) | instid1(VALU_DEP_3)
	v_fmac_f32_e32 v43, v20, v114
	v_dual_fmac_f32 v31, v12, v116 :: v_dual_mul_f32 v96, v23, v113
	v_add3_u32 v73, 0, v45, v47
	v_mul_f32_e32 v45, v26, v101
	v_mul_f32_e32 v47, v91, v95
	;; [unrolled: 1-line block ×5, first 2 shown]
	v_fma_f32 v35, v84, v100, -v45
	v_mul_f32_e32 v84, v32, v103
	v_dual_fmac_f32 v47, v36, v94 :: v_dual_mul_f32 v94, v22, v109
	v_dual_mul_f32 v36, v80, v109 :: v_dual_mul_f32 v45, v83, v111
	s_delay_alu instid0(VALU_DEP_3)
	v_fma_f32 v87, v87, v102, -v84
	v_dual_mul_f32 v101, v21, v119 :: v_dual_fmac_f32 v40, v32, v102
	v_fma_f32 v91, v85, v104, -v95
	v_mul_f32_e32 v102, v13, v121
	v_mul_f32_e32 v85, v48, v125
	v_mul_f32_e32 v42, v81, v113
	v_mul_f32_e32 v95, v9, v123
	v_mul_f32_e32 v103, v11, v125
	v_fma_f32 v24, v80, v108, -v94
	v_fmac_f32_e32 v36, v22, v108
	v_fma_f32 v80, v83, v110, -v98
	v_fmac_f32_e32 v45, v25, v110
	v_fma_f32 v25, v81, v112, -v96
	v_mul_f32_e32 v84, v30, v123
	v_fma_f32 v22, v78, v114, -v99
	v_fmac_f32_e32 v26, v27, v104
	v_fma_f32 v27, v82, v106, -v97
	v_dual_mul_f32 v32, v77, v121 :: v_dual_fmac_f32 v85, v11, v124
	v_add_f32_e32 v11, v52, v90
	v_mul_f32_e32 v100, v12, v117
	v_fma_f32 v12, v79, v118, -v101
	v_add_f32_e32 v81, v87, v91
	v_fma_f32 v20, v77, v120, -v102
	v_add_f32_e32 v11, v11, v88
	v_sub_f32_e32 v101, v43, v31
	v_mul_f32_e32 v34, v79, v119
	v_dual_add_f32 v83, v54, v27 :: v_dual_fmac_f32 v32, v13, v120
	v_fma_f32 v13, v30, v122, -v95
	v_sub_f32_e32 v95, v41, v36
	s_delay_alu instid0(VALU_DEP_4)
	v_dual_fmac_f32 v34, v21, v118 :: v_dual_add_f32 v21, v90, v88
	v_dual_add_f32 v97, v80, v25 :: v_dual_fmac_f32 v84, v9, v122
	v_fma_f32 v9, v48, v124, -v103
	v_fmac_f32_e32 v42, v23, v112
	v_fma_f32 v23, v76, v116, -v100
	v_dual_add_f32 v76, v33, v35 :: v_dual_add_f32 v103, v12, v20
	v_add_f32_e32 v78, v86, v89
	v_fma_f32 v21, -0.5, v21, v52
	v_sub_f32_e32 v79, v47, v44
	s_delay_alu instid0(VALU_DEP_4)
	v_fma_f32 v76, -0.5, v76, v56
	v_add_f32_e32 v96, v55, v80
	v_add_f32_e32 v52, v53, v86
	v_dual_add_f32 v99, v58, v22 :: v_dual_add_f32 v102, v59, v12
	v_dual_fmac_f32 v59, -0.5, v103 :: v_dual_sub_f32 v30, v46, v37
	v_dual_fmac_f32 v53, -0.5, v78 :: v_dual_add_f32 v48, v56, v33
	v_add_f32_e32 v56, v57, v87
	v_dual_sub_f32 v82, v40, v26 :: v_dual_fmac_f32 v57, -0.5, v81
	v_dual_add_f32 v94, v27, v24 :: v_dual_sub_f32 v77, v28, v10
	v_add_f32_e32 v105, v13, v9
	v_fmamk_f32 v107, v30, 0x3f5db3d7, v21
	v_dual_fmac_f32 v21, 0xbf5db3d7, v30 :: v_dual_add_f32 v48, v48, v35
	v_fmac_f32_e32 v55, -0.5, v97
	v_fmamk_f32 v97, v79, 0x3f5db3d7, v53
	v_fmac_f32_e32 v53, 0xbf5db3d7, v79
	v_fmamk_f32 v79, v82, 0x3f5db3d7, v57
	v_fma_f32 v81, -0.5, v94, v54
	v_sub_f32_e32 v98, v45, v42
	v_sub_f32_e32 v104, v34, v32
	v_add_f32_e32 v78, v83, v24
	v_fma_f32 v54, -0.5, v105, v29
	v_fmac_f32_e32 v57, 0xbf5db3d7, v82
	v_add_f32_e32 v83, v96, v25
	v_add_f32_e32 v30, v52, v89
	v_fmamk_f32 v52, v77, 0x3f5db3d7, v76
	v_dual_fmac_f32 v76, 0xbf5db3d7, v77 :: v_dual_add_f32 v77, v56, v91
	v_sub_f32_e32 v106, v84, v85
	v_fmamk_f32 v82, v95, 0x3f5db3d7, v81
	v_fmac_f32_e32 v81, 0xbf5db3d7, v95
	v_add_f32_e32 v100, v22, v23
	v_add3_u32 v72, 0, v129, v71
	v_add3_u32 v71, 0, v130, v126
	v_dual_add_f32 v94, v99, v23 :: v_dual_fmamk_f32 v95, v98, 0x3f5db3d7, v55
	v_fmac_f32_e32 v55, 0xbf5db3d7, v98
	v_fma_f32 v58, -0.5, v100, v58
	v_fmamk_f32 v99, v104, 0x3f5db3d7, v59
	v_fmac_f32_e32 v59, 0xbf5db3d7, v104
	v_fmamk_f32 v56, v106, 0x3f5db3d7, v54
	v_fmac_f32_e32 v54, 0xbf5db3d7, v106
	v_add_f32_e32 v96, v102, v20
	v_fmamk_f32 v98, v101, 0x3f5db3d7, v58
	v_fmac_f32_e32 v58, 0xbf5db3d7, v101
	ds_store_2addr_b32 v70, v11, v107 offset1:10
	ds_store_b32 v70, v21 offset:80
	ds_store_2addr_b32 v93, v30, v97 offset1:10
	ds_store_b32 v93, v53 offset:80
	ds_store_2addr_b32 v69, v48, v52 offset1:10
	ds_store_b32 v69, v76 offset:80
	ds_store_2addr_b32 v75, v77, v79 offset1:10
	ds_store_b32 v75, v57 offset:80
	ds_store_2addr_b32 v74, v78, v82 offset1:10
	ds_store_b32 v74, v81 offset:80
	ds_store_2addr_b32 v73, v83, v95 offset1:10
	ds_store_b32 v73, v55 offset:80
	ds_store_2addr_b32 v72, v94, v98 offset1:10
	ds_store_b32 v72, v58 offset:80
	ds_store_2addr_b32 v71, v96, v99 offset1:10
	ds_store_b32 v71, v59 offset:80
	s_and_saveexec_b32 s1, s0
	s_cbranch_execz .LBB0_25
; %bb.24:
	v_and_b32_e32 v11, 0xffff, v51
	v_add_f32_e32 v21, v29, v13
	s_delay_alu instid0(VALU_DEP_2) | instskip(NEXT) | instid1(VALU_DEP_2)
	v_lshlrev_b32_e32 v11, 2, v11
	v_add_f32_e32 v21, v21, v9
	s_delay_alu instid0(VALU_DEP_2)
	v_add3_u32 v11, 0, v68, v11
	ds_store_2addr_b32 v11, v21, v56 offset1:10
	ds_store_b32 v11, v54 offset:80
.LBB0_25:
	s_wait_alu 0xfffe
	s_or_b32 exec_lo, exec_lo, s1
	v_dual_add_f32 v11, v46, v37 :: v_dual_add_f32 v30, v47, v44
	v_dual_add_f32 v21, v5, v46 :: v_dual_sub_f32 v46, v86, v89
	v_sub_f32_e32 v29, v90, v88
	s_delay_alu instid0(VALU_DEP_3) | instskip(NEXT) | instid1(VALU_DEP_4)
	v_fma_f32 v5, -0.5, v11, v5
	v_dual_add_f32 v11, v6, v47 :: v_dual_fmac_f32 v6, -0.5, v30
	s_delay_alu instid0(VALU_DEP_4) | instskip(NEXT) | instid1(VALU_DEP_3)
	v_add_f32_e32 v57, v21, v37
	v_dual_add_f32 v21, v16, v28 :: v_dual_fmamk_f32 v58, v29, 0xbf5db3d7, v5
	s_delay_alu instid0(VALU_DEP_3) | instskip(SKIP_2) | instid1(VALU_DEP_4)
	v_add_f32_e32 v59, v11, v44
	v_add_f32_e32 v11, v28, v10
	;; [unrolled: 1-line block ×4, first 2 shown]
	v_dual_add_f32 v10, v17, v40 :: v_dual_fmac_f32 v5, 0x3f5db3d7, v29
	s_delay_alu instid0(VALU_DEP_4) | instskip(NEXT) | instid1(VALU_DEP_4)
	v_fma_f32 v77, -0.5, v11, v16
	v_dual_fmac_f32 v17, -0.5, v28 :: v_dual_sub_f32 v16, v87, v91
	v_sub_f32_e32 v11, v33, v35
	s_delay_alu instid0(VALU_DEP_4) | instskip(SKIP_1) | instid1(VALU_DEP_4)
	v_dual_add_f32 v81, v10, v26 :: v_dual_add_f32 v10, v41, v36
	v_fmamk_f32 v76, v46, 0xbf5db3d7, v6
	v_fmamk_f32 v82, v16, 0xbf5db3d7, v17
	s_delay_alu instid0(VALU_DEP_4)
	v_fmamk_f32 v79, v11, 0xbf5db3d7, v77
	v_fmac_f32_e32 v77, 0x3f5db3d7, v11
	v_add_f32_e32 v11, v14, v41
	v_dual_fmac_f32 v17, 0x3f5db3d7, v16 :: v_dual_add_f32 v16, v45, v42
	v_fma_f32 v83, -0.5, v10, v14
	v_sub_f32_e32 v14, v80, v25
	v_sub_f32_e32 v10, v27, v24
	v_add_f32_e32 v86, v11, v36
	v_add_f32_e32 v11, v15, v45
	v_dual_fmac_f32 v15, -0.5, v16 :: v_dual_add_f32 v16, v43, v31
	s_delay_alu instid0(VALU_DEP_4) | instskip(SKIP_1) | instid1(VALU_DEP_3)
	v_fmamk_f32 v80, v10, 0xbf5db3d7, v83
	v_dual_fmac_f32 v83, 0x3f5db3d7, v10 :: v_dual_add_f32 v10, v18, v43
	v_dual_add_f32 v87, v11, v42 :: v_dual_fmamk_f32 v88, v14, 0xbf5db3d7, v15
	s_delay_alu instid0(VALU_DEP_4) | instskip(SKIP_3) | instid1(VALU_DEP_3)
	v_fma_f32 v89, -0.5, v16, v18
	v_sub_f32_e32 v11, v22, v23
	v_dual_fmac_f32 v15, 0x3f5db3d7, v14 :: v_dual_add_f32 v14, v34, v32
	v_add_f32_e32 v90, v10, v31
	v_dual_add_f32 v10, v84, v85 :: v_dual_fmamk_f32 v91, v11, 0xbf5db3d7, v89
	v_fmac_f32_e32 v6, 0x3f5db3d7, v46
	v_dual_add_f32 v16, v19, v34 :: v_dual_sub_f32 v9, v13, v9
	v_dual_fmac_f32 v19, -0.5, v14 :: v_dual_sub_f32 v12, v12, v20
	s_delay_alu instid0(VALU_DEP_4)
	v_fma_f32 v53, -0.5, v10, v8
	v_add_nc_u32_e32 v40, 0xc00, v0
	v_add_nc_u32_e32 v46, 0x200, v0
	;; [unrolled: 1-line block ×11, first 2 shown]
	v_dual_fmac_f32 v89, 0x3f5db3d7, v11 :: v_dual_add_f32 v94, v16, v32
	v_fmamk_f32 v95, v12, 0xbf5db3d7, v19
	v_fmac_f32_e32 v19, 0x3f5db3d7, v12
	v_fmamk_f32 v55, v9, 0xbf5db3d7, v53
	v_fmac_f32_e32 v53, 0x3f5db3d7, v9
	global_wb scope:SCOPE_SE
	s_wait_dscnt 0x0
	s_barrier_signal -1
	s_barrier_wait -1
	global_inv scope:SCOPE_SE
	ds_load_2addr_b32 v[11:12], v0 offset1:90
	ds_load_2addr_b32 v[9:10], v18 offset0:104 offset1:194
	ds_load_2addr_b32 v[36:37], v40 offset0:132 offset1:222
	;; [unrolled: 1-line block ×11, first 2 shown]
	ds_load_b32 v16, v0 offset:8640
	global_wb scope:SCOPE_SE
	s_wait_dscnt 0x0
	s_barrier_signal -1
	s_barrier_wait -1
	global_inv scope:SCOPE_SE
	ds_store_2addr_b32 v70, v57, v58 offset1:10
	ds_store_b32 v70, v5 offset:80
	ds_store_2addr_b32 v93, v59, v76 offset1:10
	ds_store_b32 v93, v6 offset:80
	;; [unrolled: 2-line block ×8, first 2 shown]
	s_and_saveexec_b32 s1, s0
	s_cbranch_execz .LBB0_27
; %bb.26:
	v_dual_add_f32 v6, v8, v84 :: v_dual_and_b32 v5, 0xffff, v51
	s_delay_alu instid0(VALU_DEP_1) | instskip(NEXT) | instid1(VALU_DEP_2)
	v_lshlrev_b32_e32 v5, 2, v5
	v_add_f32_e32 v6, v6, v85
	s_delay_alu instid0(VALU_DEP_2)
	v_add3_u32 v5, 0, v68, v5
	ds_store_2addr_b32 v5, v6, v55 offset1:10
	ds_store_b32 v5, v53 offset:80
.LBB0_27:
	s_wait_alu 0xfffe
	s_or_b32 exec_lo, exec_lo, s1
	v_mul_lo_u16 v5, 0x89, v50
	global_wb scope:SCOPE_SE
	s_wait_dscnt 0x0
	s_barrier_signal -1
	s_barrier_wait -1
	global_inv scope:SCOPE_SE
	v_lshrrev_b16 v15, 12, v5
	v_mul_lo_u16 v5, 0x89, v49
	s_delay_alu instid0(VALU_DEP_2) | instskip(NEXT) | instid1(VALU_DEP_2)
	v_mul_lo_u16 v6, v15, 30
	v_lshrrev_b16 v17, 12, v5
	s_delay_alu instid0(VALU_DEP_2) | instskip(SKIP_1) | instid1(VALU_DEP_3)
	v_sub_nc_u16 v5, v92, v6
	v_mul_u32_u24_e32 v6, 0x8889, v39
	v_mul_lo_u16 v8, v17, 30
	s_delay_alu instid0(VALU_DEP_3) | instskip(NEXT) | instid1(VALU_DEP_3)
	v_and_b32_e32 v19, 0xff, v5
	v_lshrrev_b32_e32 v49, 20, v6
	s_delay_alu instid0(VALU_DEP_3) | instskip(SKIP_1) | instid1(VALU_DEP_4)
	v_sub_nc_u16 v6, v61, v8
	v_mul_u32_u24_e32 v5, 0x8889, v38
	v_lshlrev_b32_e32 v8, 5, v19
	s_delay_alu instid0(VALU_DEP_4) | instskip(NEXT) | instid1(VALU_DEP_4)
	v_mul_lo_u16 v38, v49, 30
	v_and_b32_e32 v59, 0xff, v6
	s_delay_alu instid0(VALU_DEP_4)
	v_lshrrev_b32_e32 v50, 20, v5
	v_mul_u32_u24_e32 v49, 0x258, v49
	global_load_b128 v[70:73], v8, s[8:9] offset:160
	v_sub_nc_u16 v5, v60, v38
	global_load_b128 v[79:82], v8, s[8:9] offset:176
	v_mul_lo_u16 v6, v50, 30
	v_mul_u32_u24_e32 v76, 0x258, v50
	v_and_b32_e32 v68, 0xffff, v5
	v_mul_u32_u24_e32 v5, 0x8889, v7
	s_delay_alu instid0(VALU_DEP_4) | instskip(NEXT) | instid1(VALU_DEP_3)
	v_sub_nc_u16 v6, v62, v6
	v_lshlrev_b32_e32 v7, 5, v68
	s_delay_alu instid0(VALU_DEP_3)
	v_lshrrev_b32_e32 v69, 20, v5
	global_load_b128 v[108:111], v7, s[8:9] offset:160
	v_lshlrev_b32_e32 v38, 5, v59
	v_mul_lo_u16 v5, v69, 30
	v_and_b32_e32 v17, 0xffff, v17
	v_mul_u32_u24_e32 v77, 0x258, v69
	s_delay_alu instid0(VALU_DEP_3) | instskip(NEXT) | instid1(VALU_DEP_3)
	v_sub_nc_u16 v5, v63, v5
	v_mul_u32_u24_e32 v17, 0x258, v17
	s_wait_loadcnt 0x2
	v_mul_f32_e32 v95, v36, v73
	global_load_b128 v[97:100], v38, s[8:9] offset:160
	v_and_b32_e32 v74, 0xffff, v6
	v_and_b32_e32 v75, 0xffff, v5
	global_load_b128 v[104:107], v38, s[8:9] offset:176
	s_wait_loadcnt 0x3
	v_dual_mul_f32 v93, v21, v80 :: v_dual_mul_f32 v94, v10, v71
	v_lshlrev_b32_e32 v6, 5, v74
	v_lshlrev_b32_e32 v5, 5, v75
	s_clause 0x2
	global_load_b128 v[112:115], v7, s[8:9] offset:176
	global_load_b128 v[116:119], v6, s[8:9] offset:160
	;; [unrolled: 1-line block ×3, first 2 shown]
	v_add_nc_u32_e32 v51, 0x1600, v0
	v_mul_f32_e32 v89, v32, v82
	s_wait_loadcnt 0x4
	v_mul_f32_e32 v84, v30, v98
	s_clause 0x1
	global_load_b128 v[124:127], v5, s[8:9] offset:160
	global_load_b128 v[128:131], v5, s[8:9] offset:176
	ds_load_2addr_b32 v[5:6], v18 offset0:104 offset1:194
	ds_load_2addr_b32 v[57:58], v40 offset0:132 offset1:222
	;; [unrolled: 1-line block ×4, first 2 shown]
	ds_load_2addr_b32 v[7:8], v0 offset1:90
	ds_load_2addr_b32 v[90:91], v42 offset0:28 offset1:118
	ds_load_2addr_b32 v[134:135], v43 offset0:160 offset1:250
	;; [unrolled: 1-line block ×7, first 2 shown]
	ds_load_b32 v144, v0 offset:8640
	s_wait_loadcnt 0x5
	v_dual_mul_f32 v86, v24, v105 :: v_dual_and_b32 v15, 0xffff, v15
	v_lshlrev_b32_e32 v19, 2, v19
	v_mul_f32_e32 v83, v37, v100
	v_mul_f32_e32 v85, v33, v107
	global_wb scope:SCOPE_SE
	s_wait_loadcnt_dscnt 0x0
	v_mul_f32_e32 v78, v28, v115
	v_fmac_f32_e32 v94, v6, v70
	v_mul_u32_u24_e32 v15, 0x258, v15
	s_barrier_signal -1
	v_mul_f32_e32 v145, v88, v107
	s_barrier_wait -1
	v_fmac_f32_e32 v84, v90, v97
	v_add3_u32 v69, 0, v15, v19
	v_mul_f32_e32 v19, v133, v80
	v_mul_f32_e32 v80, v58, v100
	v_lshlrev_b32_e32 v50, 2, v59
	v_mul_f32_e32 v15, v6, v71
	v_lshlrev_b32_e32 v59, 2, v68
	v_lshlrev_b32_e32 v68, 2, v74
	v_dual_mul_f32 v107, v134, v105 :: v_dual_lshlrev_b32 v74, 2, v75
	v_add3_u32 v52, 0, v17, v50
	v_mul_f32_e32 v17, v57, v73
	v_add3_u32 v50, 0, v49, v59
	v_add3_u32 v49, 0, v76, v68
	v_add3_u32 v68, 0, v77, v74
	v_mul_f32_e32 v74, v87, v82
	v_fma_f32 v100, v10, v70, -v15
	v_fma_f32 v101, v36, v72, -v17
	v_mul_f32_e32 v10, v142, v121
	v_dual_mul_f32 v82, v90, v98 :: v_dual_mul_f32 v105, v91, v109
	v_mul_f32_e32 v75, v31, v109
	v_mul_f32_e32 v109, v136, v111
	v_dual_mul_f32 v76, v34, v111 :: v_dual_mul_f32 v111, v135, v113
	v_dual_mul_f32 v77, v25, v113 :: v_dual_fmac_f32 v86, v134, v104
	s_delay_alu instid0(VALU_DEP_2)
	v_dual_mul_f32 v113, v138, v115 :: v_dual_fmac_f32 v76, v136, v110
	v_dual_mul_f32 v115, v140, v117 :: v_dual_fmac_f32 v78, v138, v114
	v_fma_f32 v103, v32, v81, -v74
	v_fmac_f32_e32 v89, v87, v81
	v_fma_f32 v96, v37, v99, -v80
	v_fma_f32 v80, v22, v120, -v10
	v_dual_mul_f32 v73, v29, v123 :: v_dual_add_f32 v10, v11, v100
	v_fma_f32 v102, v21, v79, -v19
	v_fmac_f32_e32 v93, v133, v79
	v_fma_f32 v98, v30, v97, -v82
	v_fma_f32 v97, v24, v104, -v107
	;; [unrolled: 1-line block ×4, first 2 shown]
	global_inv scope:SCOPE_SE
	v_add_f32_e32 v24, v12, v98
	v_add_f32_e32 v10, v10, v101
	s_delay_alu instid0(VALU_DEP_1) | instskip(NEXT) | instid1(VALU_DEP_1)
	v_add_f32_e32 v10, v10, v102
	v_add_f32_e32 v10, v10, v103
	v_mul_f32_e32 v36, v27, v125
	v_dual_mul_f32 v59, v26, v117 :: v_dual_mul_f32 v32, v144, v131
	v_dual_mul_f32 v6, v16, v131 :: v_dual_fmac_f32 v95, v57, v72
	v_dual_mul_f32 v72, v22, v121 :: v_dual_mul_f32 v117, v137, v119
	v_dual_sub_f32 v22, v101, v100 :: v_dual_mul_f32 v15, v139, v123
	v_mul_f32_e32 v17, v141, v125
	v_mul_f32_e32 v19, v132, v127
	;; [unrolled: 1-line block ×4, first 2 shown]
	v_fmac_f32_e32 v85, v88, v106
	v_fmac_f32_e32 v83, v58, v99
	v_fma_f32 v99, v33, v106, -v145
	v_mul_f32_e32 v21, v143, v129
	v_fma_f32 v90, v31, v108, -v105
	v_fmac_f32_e32 v75, v91, v108
	v_fma_f32 v88, v25, v112, -v111
	v_fma_f32 v91, v28, v114, -v113
	v_fmac_f32_e32 v72, v142, v120
	v_sub_f32_e32 v106, v90, v87
	v_fma_f32 v79, v35, v118, -v117
	v_fma_f32 v74, v16, v130, -v32
	v_sub_f32_e32 v16, v94, v89
	v_fma_f32 v82, v29, v122, -v15
	v_dual_mul_f32 v37, v23, v129 :: v_dual_sub_f32 v32, v97, v99
	v_dual_fmac_f32 v77, v135, v112 :: v_dual_add_f32 v108, v90, v91
	v_fmac_f32_e32 v73, v139, v122
	v_fma_f32 v35, v27, v124, -v17
	v_fmac_f32_e32 v36, v141, v124
	v_dual_fmac_f32 v59, v140, v116 :: v_dual_sub_f32 v104, v75, v78
	v_fmac_f32_e32 v70, v132, v126
	v_dual_fmac_f32 v71, v137, v118 :: v_dual_sub_f32 v110, v88, v91
	v_dual_add_f32 v25, v96, v97 :: v_dual_sub_f32 v28, v98, v96
	v_fma_f32 v33, v20, v126, -v19
	v_dual_add_f32 v126, v35, v74 :: v_dual_sub_f32 v19, v100, v101
	s_delay_alu instid0(VALU_DEP_4)
	v_sub_f32_e32 v114, v71, v72
	v_sub_f32_e32 v20, v103, v102
	v_add_f32_e32 v30, v98, v99
	v_fma_f32 v34, v23, v128, -v21
	v_dual_sub_f32 v23, v102, v103 :: v_dual_sub_f32 v124, v35, v33
	v_dual_sub_f32 v115, v81, v79 :: v_dual_sub_f32 v116, v82, v80
	v_dual_fmac_f32 v37, v143, v128 :: v_dual_add_f32 v120, v9, v35
	v_dual_add_f32 v15, v101, v102 :: v_dual_add_f32 v112, v79, v80
	v_dual_add_f32 v21, v100, v103 :: v_dual_sub_f32 v118, v79, v81
	v_dual_sub_f32 v29, v99, v97 :: v_dual_sub_f32 v128, v34, v74
	v_dual_add_f32 v57, v13, v90 :: v_dual_add_f32 v58, v87, v88
	v_dual_sub_f32 v26, v84, v85 :: v_dual_sub_f32 v27, v83, v86
	v_sub_f32_e32 v105, v76, v77
	v_add_f32_e32 v111, v14, v81
	v_dual_add_f32 v19, v19, v20 :: v_dual_add_f32 v20, v22, v23
	v_fma_f32 v23, -0.5, v25, v12
	v_fmac_f32_e32 v12, -0.5, v30
	v_dual_add_f32 v30, v115, v116 :: v_dual_add_f32 v117, v81, v82
	v_sub_f32_e32 v107, v91, v88
	v_sub_f32_e32 v31, v96, v98
	;; [unrolled: 1-line block ×3, first 2 shown]
	v_add_f32_e32 v22, v28, v29
	s_delay_alu instid0(VALU_DEP_4)
	v_dual_sub_f32 v113, v59, v73 :: v_dual_add_f32 v28, v106, v107
	v_fma_f32 v15, -0.5, v15, v11
	v_fma_f32 v11, -0.5, v21, v11
	v_dual_add_f32 v21, v24, v96 :: v_dual_add_f32 v24, v57, v87
	v_add_f32_e32 v25, v31, v32
	v_fma_f32 v31, -0.5, v112, v14
	v_dual_fmamk_f32 v112, v26, 0x3f737871, v23 :: v_dual_sub_f32 v109, v87, v90
	v_add_f32_e32 v32, v118, v119
	v_fmac_f32_e32 v6, v144, v130
	v_sub_f32_e32 v125, v74, v34
	v_fmamk_f32 v115, v27, 0xbf737871, v12
	v_dual_fmac_f32 v12, 0x3f737871, v27 :: v_dual_add_f32 v121, v33, v34
	s_delay_alu instid0(VALU_DEP_4)
	v_dual_sub_f32 v17, v95, v93 :: v_dual_sub_f32 v122, v36, v6
	v_sub_f32_e32 v123, v70, v37
	v_dual_add_f32 v29, v109, v110 :: v_dual_add_f32 v24, v24, v88
	v_add_f32_e32 v106, v111, v79
	v_fmac_f32_e32 v14, -0.5, v117
	v_add_f32_e32 v107, v120, v33
	v_fmamk_f32 v110, v16, 0x3f737871, v15
	v_fma_f32 v57, -0.5, v58, v13
	v_add_f32_e32 v106, v106, v80
	v_fma_f32 v13, -0.5, v108, v13
	v_add_f32_e32 v108, v124, v125
	v_fma_f32 v58, -0.5, v121, v9
	v_fmac_f32_e32 v9, -0.5, v126
	v_sub_f32_e32 v127, v33, v35
	v_fmac_f32_e32 v15, 0xbf737871, v16
	v_fmamk_f32 v119, v114, 0xbf737871, v14
	v_dual_fmac_f32 v14, 0x3f737871, v114 :: v_dual_add_f32 v21, v21, v97
	v_dual_fmac_f32 v112, 0x3f167918, v27 :: v_dual_add_f32 v107, v107, v34
	v_fmac_f32_e32 v110, 0x3f167918, v17
	v_fmamk_f32 v111, v17, 0xbf737871, v11
	v_fmac_f32_e32 v11, 0x3f737871, v17
	v_fmac_f32_e32 v23, 0xbf737871, v26
	v_fmamk_f32 v117, v105, 0xbf737871, v13
	v_fmac_f32_e32 v13, 0x3f737871, v105
	v_fmamk_f32 v118, v113, 0x3f737871, v31
	;; [unrolled: 2-line block ×3, first 2 shown]
	v_fmamk_f32 v121, v123, 0xbf737871, v9
	v_fmac_f32_e32 v9, 0x3f737871, v123
	v_dual_add_f32 v109, v127, v128 :: v_dual_fmac_f32 v58, 0xbf737871, v122
	v_fmamk_f32 v116, v104, 0x3f737871, v57
	v_fmac_f32_e32 v57, 0xbf737871, v104
	v_dual_fmac_f32 v15, 0xbf167918, v17 :: v_dual_fmac_f32 v12, 0xbf167918, v26
	v_dual_fmac_f32 v11, 0xbf167918, v16 :: v_dual_fmac_f32 v14, 0xbf167918, v113
	v_dual_add_f32 v17, v24, v91 :: v_dual_fmac_f32 v112, 0x3e9e377a, v22
	v_dual_add_f32 v24, v107, v74 :: v_dual_fmac_f32 v111, 0x3f167918, v16
	v_fmac_f32_e32 v116, 0x3f167918, v105
	v_fmac_f32_e32 v23, 0xbf167918, v27
	v_dual_fmac_f32 v115, 0x3f167918, v26 :: v_dual_fmac_f32 v120, 0x3f167918, v123
	v_fmac_f32_e32 v13, 0xbf167918, v104
	v_fmac_f32_e32 v31, 0xbf167918, v114
	;; [unrolled: 1-line block ×3, first 2 shown]
	v_dual_fmac_f32 v57, 0xbf167918, v105 :: v_dual_fmac_f32 v58, 0xbf167918, v123
	v_dual_fmac_f32 v117, 0x3f167918, v104 :: v_dual_fmac_f32 v118, 0x3f167918, v114
	v_dual_add_f32 v16, v21, v99 :: v_dual_add_f32 v21, v106, v82
	v_fmac_f32_e32 v110, 0x3e9e377a, v19
	v_fmac_f32_e32 v119, 0x3f167918, v113
	;; [unrolled: 1-line block ×3, first 2 shown]
	v_dual_fmac_f32 v111, 0x3e9e377a, v20 :: v_dual_fmac_f32 v118, 0x3e9e377a, v30
	v_fmac_f32_e32 v11, 0x3e9e377a, v20
	v_dual_fmac_f32 v15, 0x3e9e377a, v19 :: v_dual_fmac_f32 v12, 0x3e9e377a, v25
	v_dual_fmac_f32 v23, 0x3e9e377a, v22 :: v_dual_fmac_f32 v116, 0x3e9e377a, v28
	;; [unrolled: 1-line block ×4, first 2 shown]
	v_fmac_f32_e32 v31, 0x3e9e377a, v30
	v_fmac_f32_e32 v9, 0x3e9e377a, v109
	v_fmac_f32_e32 v57, 0x3e9e377a, v28
	v_dual_fmac_f32 v117, 0x3e9e377a, v29 :: v_dual_fmac_f32 v120, 0x3e9e377a, v108
	v_fmac_f32_e32 v119, 0x3e9e377a, v32
	v_fmac_f32_e32 v121, 0x3e9e377a, v109
	ds_store_2addr_b32 v69, v10, v110 offset1:30
	ds_store_2addr_b32 v69, v111, v11 offset0:60 offset1:90
	ds_store_b32 v69, v15 offset:480
	ds_store_2addr_b32 v52, v16, v112 offset1:30
	ds_store_2addr_b32 v52, v115, v12 offset0:60 offset1:90
	ds_store_b32 v52, v23 offset:480
	;; [unrolled: 3-line block ×5, first 2 shown]
	global_wb scope:SCOPE_SE
	s_wait_dscnt 0x0
	s_barrier_signal -1
	s_barrier_wait -1
	global_inv scope:SCOPE_SE
	ds_load_2addr_b32 v[15:16], v0 offset1:90
	ds_load_2addr_b32 v[31:32], v48 offset0:110 offset1:200
	ds_load_2addr_b32 v[29:30], v51 offset0:92 offset1:182
	;; [unrolled: 1-line block ×11, first 2 shown]
	v_lshl_add_u32 v57, v92, 2, 0
	s_and_saveexec_b32 s1, s0
	s_cbranch_execz .LBB0_29
; %bb.28:
	ds_load_b32 v56, v0 offset:5880
	ds_load_b32 v58, v57 offset:2880
	;; [unrolled: 1-line block ×3, first 2 shown]
.LBB0_29:
	s_wait_alu 0xfffe
	s_or_b32 exec_lo, exec_lo, s1
	v_dual_add_f32 v40, v95, v93 :: v_dual_sub_f32 v43, v101, v102
	v_dual_add_f32 v41, v7, v94 :: v_dual_sub_f32 v42, v100, v103
	;; [unrolled: 1-line block ×3, first 2 shown]
	s_delay_alu instid0(VALU_DEP_3) | instskip(NEXT) | instid1(VALU_DEP_3)
	v_fma_f32 v40, -0.5, v40, v7
	v_add_f32_e32 v41, v41, v95
	v_dual_sub_f32 v44, v94, v95 :: v_dual_sub_f32 v45, v89, v93
	s_delay_alu instid0(VALU_DEP_4) | instskip(NEXT) | instid1(VALU_DEP_3)
	v_fma_f32 v7, -0.5, v46, v7
	v_dual_fmamk_f32 v48, v42, 0xbf737871, v40 :: v_dual_add_f32 v41, v41, v93
	v_sub_f32_e32 v94, v93, v89
	s_delay_alu instid0(VALU_DEP_3) | instskip(NEXT) | instid1(VALU_DEP_3)
	v_dual_add_f32 v44, v44, v45 :: v_dual_fmamk_f32 v45, v43, 0x3f737871, v7
	v_fmac_f32_e32 v48, 0xbf167918, v43
	s_delay_alu instid0(VALU_DEP_4) | instskip(SKIP_1) | instid1(VALU_DEP_4)
	v_dual_fmac_f32 v40, 0x3f737871, v42 :: v_dual_add_f32 v41, v41, v89
	v_dual_add_f32 v46, v83, v86 :: v_dual_add_f32 v89, v8, v84
	v_fmac_f32_e32 v45, 0xbf167918, v42
	s_delay_alu instid0(VALU_DEP_4) | instskip(NEXT) | instid1(VALU_DEP_4)
	v_dual_fmac_f32 v48, 0x3e9e377a, v44 :: v_dual_add_f32 v47, v47, v94
	v_fmac_f32_e32 v40, 0x3f167918, v43
	s_delay_alu instid0(VALU_DEP_4)
	v_fma_f32 v46, -0.5, v46, v8
	v_fmac_f32_e32 v7, 0xbf737871, v43
	v_add_f32_e32 v43, v89, v83
	v_sub_f32_e32 v89, v96, v97
	v_dual_sub_f32 v93, v98, v99 :: v_dual_fmac_f32 v40, 0x3e9e377a, v44
	v_dual_fmac_f32 v45, 0x3e9e377a, v47 :: v_dual_add_f32 v96, v84, v85
	v_dual_sub_f32 v94, v84, v83 :: v_dual_sub_f32 v95, v85, v86
	s_delay_alu instid0(VALU_DEP_3) | instskip(NEXT) | instid1(VALU_DEP_3)
	v_fmamk_f32 v44, v93, 0xbf737871, v46
	v_dual_fmac_f32 v7, 0x3f167918, v42 :: v_dual_fmac_f32 v8, -0.5, v96
	v_dual_fmac_f32 v46, 0x3f737871, v93 :: v_dual_sub_f32 v83, v83, v84
	s_delay_alu instid0(VALU_DEP_3) | instskip(SKIP_1) | instid1(VALU_DEP_4)
	v_fmac_f32_e32 v44, 0xbf167918, v89
	v_dual_add_f32 v42, v43, v86 :: v_dual_add_f32 v43, v94, v95
	v_fmac_f32_e32 v7, 0x3e9e377a, v47
	v_dual_fmamk_f32 v47, v89, 0x3f737871, v8 :: v_dual_sub_f32 v84, v86, v85
	s_delay_alu instid0(VALU_DEP_3) | instskip(SKIP_1) | instid1(VALU_DEP_3)
	v_add_f32_e32 v42, v42, v85
	v_dual_fmac_f32 v46, 0x3f167918, v89 :: v_dual_add_f32 v85, v38, v75
	v_dual_fmac_f32 v44, 0x3e9e377a, v43 :: v_dual_add_f32 v83, v83, v84
	s_delay_alu instid0(VALU_DEP_4) | instskip(SKIP_1) | instid1(VALU_DEP_4)
	v_fmac_f32_e32 v47, 0xbf167918, v93
	v_dual_fmac_f32 v8, 0xbf737871, v89 :: v_dual_add_f32 v89, v75, v78
	v_add_f32_e32 v84, v85, v76
	s_delay_alu instid0(VALU_DEP_3) | instskip(SKIP_1) | instid1(VALU_DEP_3)
	v_dual_add_f32 v86, v76, v77 :: v_dual_fmac_f32 v47, 0x3e9e377a, v83
	v_dual_fmac_f32 v46, 0x3e9e377a, v43 :: v_dual_sub_f32 v87, v87, v88
	v_add_f32_e32 v43, v84, v77
	s_delay_alu instid0(VALU_DEP_3) | instskip(SKIP_4) | instid1(VALU_DEP_4)
	v_fma_f32 v85, -0.5, v86, v38
	v_sub_f32_e32 v86, v90, v91
	v_fmac_f32_e32 v8, 0x3f167918, v93
	v_sub_f32_e32 v88, v75, v76
	v_dual_sub_f32 v90, v78, v77 :: v_dual_sub_f32 v75, v76, v75
	v_dual_fmamk_f32 v84, v86, 0xbf737871, v85 :: v_dual_add_f32 v43, v43, v78
	s_delay_alu instid0(VALU_DEP_4) | instskip(SKIP_4) | instid1(VALU_DEP_4)
	v_fmac_f32_e32 v8, 0x3e9e377a, v83
	v_fmac_f32_e32 v85, 0x3f737871, v86
	v_dual_sub_f32 v76, v77, v78 :: v_dual_add_f32 v77, v71, v72
	v_fma_f32 v38, -0.5, v89, v38
	v_add_f32_e32 v83, v88, v90
	v_fmac_f32_e32 v85, 0x3f167918, v87
	s_delay_alu instid0(VALU_DEP_4) | instskip(SKIP_1) | instid1(VALU_DEP_3)
	v_dual_fmac_f32 v84, 0xbf167918, v87 :: v_dual_add_f32 v75, v75, v76
	v_fma_f32 v77, -0.5, v77, v39
	v_dual_sub_f32 v78, v81, v82 :: v_dual_fmac_f32 v85, 0x3e9e377a, v83
	v_fmamk_f32 v88, v87, 0x3f737871, v38
	s_delay_alu instid0(VALU_DEP_4) | instskip(NEXT) | instid1(VALU_DEP_3)
	v_dual_fmac_f32 v84, 0x3e9e377a, v83 :: v_dual_sub_f32 v79, v79, v80
	v_dual_fmac_f32 v38, 0xbf737871, v87 :: v_dual_fmamk_f32 v81, v78, 0xbf737871, v77
	v_sub_f32_e32 v80, v59, v71
	v_dual_sub_f32 v82, v73, v72 :: v_dual_fmac_f32 v77, 0x3f737871, v78
	v_dual_fmac_f32 v88, 0xbf167918, v86 :: v_dual_add_f32 v83, v59, v73
	s_delay_alu instid0(VALU_DEP_2) | instskip(SKIP_1) | instid1(VALU_DEP_4)
	v_dual_fmac_f32 v81, 0xbf167918, v79 :: v_dual_add_f32 v80, v80, v82
	v_add_f32_e32 v76, v39, v59
	v_dual_fmac_f32 v38, 0x3f167918, v86 :: v_dual_fmac_f32 v77, 0x3f167918, v79
	s_delay_alu instid0(VALU_DEP_4) | instskip(NEXT) | instid1(VALU_DEP_3)
	v_fmac_f32_e32 v39, -0.5, v83
	v_dual_fmac_f32 v81, 0x3e9e377a, v80 :: v_dual_add_f32 v76, v76, v71
	v_sub_f32_e32 v71, v71, v59
	s_delay_alu instid0(VALU_DEP_4) | instskip(NEXT) | instid1(VALU_DEP_3)
	v_dual_fmac_f32 v77, 0x3e9e377a, v80 :: v_dual_fmac_f32 v38, 0x3e9e377a, v75
	v_dual_sub_f32 v35, v35, v74 :: v_dual_add_f32 v76, v76, v72
	v_fmac_f32_e32 v88, 0x3e9e377a, v75
	v_dual_add_f32 v80, v70, v37 :: v_dual_sub_f32 v33, v33, v34
	global_wb scope:SCOPE_SE
	s_wait_dscnt 0x0
	v_dual_add_f32 v75, v76, v73 :: v_dual_fmamk_f32 v76, v79, 0x3f737871, v39
	v_dual_fmac_f32 v39, 0xbf737871, v79 :: v_dual_sub_f32 v72, v72, v73
	v_add_f32_e32 v73, v5, v36
	v_fma_f32 v59, -0.5, v80, v5
	s_barrier_signal -1
	s_delay_alu instid0(VALU_DEP_3) | instskip(SKIP_1) | instid1(VALU_DEP_3)
	v_fmac_f32_e32 v39, 0x3f167918, v78
	v_dual_fmac_f32 v76, 0xbf167918, v78 :: v_dual_add_f32 v71, v71, v72
	v_dual_add_f32 v72, v73, v70 :: v_dual_fmamk_f32 v73, v35, 0xbf737871, v59
	v_dual_add_f32 v74, v36, v6 :: v_dual_fmac_f32 v59, 0x3f737871, v35
	s_delay_alu instid0(VALU_DEP_3) | instskip(NEXT) | instid1(VALU_DEP_4)
	v_fmac_f32_e32 v39, 0x3e9e377a, v71
	v_fmac_f32_e32 v76, 0x3e9e377a, v71
	s_delay_alu instid0(VALU_DEP_3) | instskip(SKIP_3) | instid1(VALU_DEP_3)
	v_dual_add_f32 v34, v72, v37 :: v_dual_fmac_f32 v5, -0.5, v74
	v_dual_sub_f32 v71, v36, v70 :: v_dual_sub_f32 v72, v6, v37
	v_dual_fmac_f32 v73, 0xbf167918, v33 :: v_dual_sub_f32 v36, v70, v36
	v_sub_f32_e32 v37, v37, v6
	v_dual_fmac_f32 v59, 0x3f167918, v33 :: v_dual_add_f32 v70, v71, v72
	v_fmamk_f32 v74, v33, 0x3f737871, v5
	v_dual_fmac_f32 v5, 0xbf737871, v33 :: v_dual_add_f32 v6, v34, v6
	s_delay_alu instid0(VALU_DEP_4) | instskip(NEXT) | instid1(VALU_DEP_4)
	v_add_f32_e32 v33, v36, v37
	v_fmac_f32_e32 v59, 0x3e9e377a, v70
	s_delay_alu instid0(VALU_DEP_4) | instskip(NEXT) | instid1(VALU_DEP_4)
	v_fmac_f32_e32 v74, 0xbf167918, v35
	v_fmac_f32_e32 v5, 0x3f167918, v35
	;; [unrolled: 1-line block ×3, first 2 shown]
	s_barrier_wait -1
	global_inv scope:SCOPE_SE
	v_fmac_f32_e32 v74, 0x3e9e377a, v33
	v_fmac_f32_e32 v5, 0x3e9e377a, v33
	ds_store_2addr_b32 v69, v41, v48 offset1:30
	ds_store_2addr_b32 v69, v45, v7 offset0:60 offset1:90
	ds_store_b32 v69, v40 offset:480
	ds_store_2addr_b32 v52, v42, v44 offset1:30
	ds_store_2addr_b32 v52, v47, v8 offset0:60 offset1:90
	ds_store_b32 v52, v46 offset:480
	;; [unrolled: 3-line block ×5, first 2 shown]
	v_add_nc_u32_e32 v5, 0xa00, v0
	global_wb scope:SCOPE_SE
	s_wait_dscnt 0x0
	s_barrier_signal -1
	s_barrier_wait -1
	global_inv scope:SCOPE_SE
	ds_load_2addr_b32 v[33:34], v0 offset1:90
	ds_load_2addr_b32 v[49:50], v5 offset0:110 offset1:200
	v_add_nc_u32_e32 v5, 0x200, v0
	v_add_nc_u32_e32 v6, 0xc00, v0
	;; [unrolled: 1-line block ×4, first 2 shown]
	ds_load_2addr_b32 v[51:52], v51 offset0:92 offset1:182
	ds_load_2addr_b32 v[35:36], v5 offset0:52 offset1:142
	ds_load_2addr_b32 v[43:44], v6 offset0:162 offset1:252
	ds_load_2addr_b32 v[41:42], v7 offset0:144 offset1:234
	ds_load_2addr_b32 v[5:6], v8 offset0:104 offset1:194
	v_add_nc_u32_e32 v7, 0x1000, v0
	v_add_nc_u32_e32 v8, 0x1c00, v0
	;; [unrolled: 1-line block ×5, first 2 shown]
	ds_load_2addr_b32 v[47:48], v7 offset0:86 offset1:176
	ds_load_2addr_b32 v[45:46], v8 offset0:68 offset1:158
	;; [unrolled: 1-line block ×5, first 2 shown]
	s_and_saveexec_b32 s1, s0
	s_cbranch_execz .LBB0_31
; %bb.30:
	ds_load_b32 v55, v0 offset:5880
	ds_load_b32 v59, v57 offset:2880
	;; [unrolled: 1-line block ×3, first 2 shown]
.LBB0_31:
	s_wait_alu 0xfffe
	s_or_b32 exec_lo, exec_lo, s1
	v_lshrrev_b16 v70, 1, v62
	v_dual_mov_b32 v69, 0 :: v_dual_lshlrev_b32 v68, 1, v92
	v_subrev_nc_u32_e32 v71, 60, v92
	v_cmp_gt_u32_e64 s1, 60, v92
	s_delay_alu instid0(VALU_DEP_4)
	v_and_b32_e32 v70, 0xffff, v70
	v_lshrrev_b16 v74, 1, v63
	v_mov_b32_e32 v73, v69
	v_lshrrev_b16 v79, 1, v64
	s_wait_alu 0xf1ff
	v_cndmask_b32_e64 v80, v71, v61, s1
	v_mul_u32_u24_e32 v75, 0xda75, v70
	v_lshlrev_b64_e32 v[70:71], 3, v[68:69]
	s_delay_alu instid0(VALU_DEP_2) | instskip(NEXT) | instid1(VALU_DEP_2)
	v_lshrrev_b32_e32 v89, 22, v75
	v_add_co_u32 v70, s1, s8, v70
	s_wait_alu 0xf1ff
	s_delay_alu instid0(VALU_DEP_3) | instskip(NEXT) | instid1(VALU_DEP_3)
	v_add_co_ci_u32_e64 v71, s1, s9, v71, s1
	v_mul_lo_u16 v81, 0x96, v89
	global_load_b128 v[75:78], v[70:71], off offset:1120
	v_add_nc_u32_e32 v68, 60, v68
	v_lshlrev_b32_e32 v72, 1, v80
	v_sub_nc_u16 v70, v62, v81
	v_and_b32_e32 v74, 0xffff, v74
	s_delay_alu instid0(VALU_DEP_4) | instskip(NEXT) | instid1(VALU_DEP_4)
	v_lshlrev_b64_e32 v[68:69], 3, v[68:69]
	v_lshlrev_b64_e32 v[72:73], 3, v[72:73]
	s_delay_alu instid0(VALU_DEP_2) | instskip(SKIP_1) | instid1(VALU_DEP_3)
	v_add_co_u32 v68, s1, s8, v68
	s_wait_alu 0xf1ff
	v_add_co_ci_u32_e64 v69, s1, s9, v69, s1
	global_load_b128 v[81:84], v[68:69], off offset:1120
	v_and_b32_e32 v90, 0xffff, v70
	v_add_co_u32 v70, s1, s8, v72
	s_wait_alu 0xf1ff
	v_add_co_ci_u32_e64 v71, s1, s9, v73, s1
	v_cmp_lt_u32_e64 s1, 59, v92
	global_load_b128 v[85:88], v[70:71], off offset:1120
	v_mul_u32_u24_e32 v70, 0xda75, v74
	v_and_b32_e32 v72, 0xffff, v79
	v_lshlrev_b32_e32 v68, 4, v90
	v_lshrrev_b16 v69, 1, v65
	v_mul_u32_u24_e32 v74, 0x708, v89
	v_lshrrev_b32_e32 v70, 22, v70
	v_mul_u32_u24_e32 v71, 0xda75, v72
	v_lshrrev_b16 v72, 1, v67
	global_load_b128 v[93:96], v68, s[8:9] offset:1120
	v_and_b32_e32 v69, 0xffff, v69
	v_mul_lo_u16 v70, 0x96, v70
	v_lshrrev_b32_e32 v71, 22, v71
	v_and_b32_e32 v72, 0xffff, v72
	s_delay_alu instid0(VALU_DEP_4) | instskip(NEXT) | instid1(VALU_DEP_4)
	v_mul_u32_u24_e32 v69, 0xda75, v69
	v_sub_nc_u16 v70, v63, v70
	s_delay_alu instid0(VALU_DEP_4) | instskip(NEXT) | instid1(VALU_DEP_4)
	v_mul_lo_u16 v71, 0x96, v71
	v_mul_u32_u24_e32 v72, 0xda75, v72
	s_delay_alu instid0(VALU_DEP_4) | instskip(NEXT) | instid1(VALU_DEP_4)
	v_lshrrev_b32_e32 v69, 22, v69
	v_and_b32_e32 v70, 0xffff, v70
	s_delay_alu instid0(VALU_DEP_4) | instskip(NEXT) | instid1(VALU_DEP_4)
	v_sub_nc_u16 v64, v64, v71
	v_lshrrev_b32_e32 v71, 22, v72
	s_delay_alu instid0(VALU_DEP_4) | instskip(NEXT) | instid1(VALU_DEP_4)
	v_mul_lo_u16 v73, 0x96, v69
	v_lshlrev_b32_e32 v72, 4, v70
	s_delay_alu instid0(VALU_DEP_4) | instskip(NEXT) | instid1(VALU_DEP_4)
	v_and_b32_e32 v64, 0xffff, v64
	v_mul_lo_u16 v71, 0x96, v71
	v_mul_u32_u24_e32 v79, 0x708, v69
	v_sub_nc_u16 v65, v65, v73
	global_load_b128 v[97:100], v72, s[8:9] offset:1120
	v_lshrrev_b16 v68, 1, v66
	v_sub_nc_u16 v67, v67, v71
	v_and_b32_e32 v73, 0xffff, v65
	v_lshlrev_b32_e32 v65, 4, v64
	s_delay_alu instid0(VALU_DEP_4) | instskip(NEXT) | instid1(VALU_DEP_4)
	v_and_b32_e32 v68, 0xffff, v68
	v_and_b32_e32 v72, 0xffff, v67
	v_lshlrev_b32_e32 v67, 2, v80
	v_lshlrev_b32_e32 v80, 2, v90
	global_load_b128 v[101:104], v65, s[8:9] offset:1120
	v_mul_u32_u24_e32 v68, 0xda75, v68
	s_delay_alu instid0(VALU_DEP_1) | instskip(NEXT) | instid1(VALU_DEP_1)
	v_lshrrev_b32_e32 v68, 22, v68
	v_mul_lo_u16 v68, 0x96, v68
	s_delay_alu instid0(VALU_DEP_1) | instskip(NEXT) | instid1(VALU_DEP_1)
	v_sub_nc_u16 v66, v66, v68
	v_and_b32_e32 v71, 0xffff, v66
	v_lshlrev_b32_e32 v66, 4, v73
	s_delay_alu instid0(VALU_DEP_2)
	v_lshl_add_u32 v69, v71, 2, 0
	global_load_b128 v[105:108], v66, s[8:9] offset:1120
	v_lshlrev_b32_e32 v65, 4, v71
	v_add3_u32 v71, 0, v74, v80
	s_wait_loadcnt_dscnt 0x60a
	v_mul_f32_e32 v74, v49, v76
	v_mul_f32_e32 v76, v31, v76
	s_delay_alu instid0(VALU_DEP_1)
	v_fmac_f32_e32 v76, v49, v75
	v_lshlrev_b32_e32 v66, 4, v72
	s_clause 0x1
	global_load_b128 v[109:112], v65, s[8:9] offset:1120
	global_load_b128 v[113:116], v66, s[8:9] offset:1120
	s_wait_alu 0xf1ff
	v_cndmask_b32_e64 v66, 0, 0x708, s1
	global_wb scope:SCOPE_SE
	s_wait_loadcnt_dscnt 0x0
	s_barrier_signal -1
	s_barrier_wait -1
	global_inv scope:SCOPE_SE
	v_add3_u32 v66, 0, v66, v67
	v_lshl_add_u32 v67, v70, 2, 0
	v_dual_mul_f32 v73, v29, v78 :: v_dual_lshlrev_b32 v70, 2, v73
	v_mul_f32_e32 v49, v41, v84
	s_delay_alu instid0(VALU_DEP_2)
	v_add3_u32 v70, 0, v79, v70
	v_mul_f32_e32 v79, v51, v78
	v_fma_f32 v78, v31, v75, -v74
	v_mul_f32_e32 v31, v43, v82
	v_fmac_f32_e32 v73, v51, v77
	v_mul_f32_e32 v51, v27, v82
	v_fma_f32 v80, v29, v77, -v79
	v_mul_f32_e32 v29, v25, v84
	v_mul_f32_e32 v75, v50, v86
	v_mul_f32_e32 v79, v32, v86
	v_mul_f32_e32 v77, v52, v88
	v_mul_f32_e32 v74, v30, v88
	v_fma_f32 v31, v27, v81, -v31
	v_add_f32_e32 v27, v78, v80
	v_lshl_add_u32 v68, v64, 2, 0
	v_add_nc_u32_e32 v90, 0x1c00, v69
	v_fmac_f32_e32 v51, v43, v81
	v_fma_f32 v43, v25, v83, -v49
	v_fmac_f32_e32 v29, v41, v83
	v_add_f32_e32 v25, v15, v78
	v_sub_f32_e32 v41, v76, v73
	v_fma_f32 v81, v32, v85, -v75
	v_fmac_f32_e32 v79, v50, v85
	v_fma_f32 v82, v30, v87, -v77
	v_fmac_f32_e32 v74, v52, v87
	v_fma_f32 v83, -0.5, v27, v15
	v_add_f32_e32 v15, v13, v31
	s_delay_alu instid0(VALU_DEP_4)
	v_dual_add_f32 v88, v81, v82 :: v_dual_add_nc_u32 v65, 0x600, v57
	v_add_nc_u32_e32 v89, 0x1400, v68
	v_dual_add_f32 v84, v25, v80 :: v_dual_add_f32 v25, v31, v43
	v_fmamk_f32 v86, v41, 0x3f5db3d7, v83
	v_fmac_f32_e32 v83, 0xbf5db3d7, v41
	v_dual_add_f32 v87, v16, v81 :: v_dual_mul_f32 v52, v23, v98
	v_sub_f32_e32 v91, v79, v74
	v_add_f32_e32 v117, v15, v43
	v_mul_f32_e32 v119, v44, v94
	v_dual_mul_f32 v77, v28, v94 :: v_dual_mul_f32 v94, v42, v96
	v_dual_mul_f32 v75, v26, v96 :: v_dual_mul_f32 v96, v47, v98
	v_mul_f32_e32 v98, v45, v100
	v_dual_mul_f32 v49, v21, v100 :: v_dual_mul_f32 v100, v48, v102
	v_mul_f32_e32 v50, v24, v102
	v_mul_f32_e32 v102, v46, v104
	v_lshl_add_u32 v64, v72, 2, 0
	v_dual_sub_f32 v85, v51, v29 :: v_dual_add_nc_u32 v72, 0xe00, v67
	v_fma_f32 v118, -0.5, v25, v13
	v_mul_f32_e32 v30, v22, v104
	v_dual_fmac_f32 v16, -0.5, v88 :: v_dual_fmac_f32 v77, v44, v93
	v_fma_f32 v28, v28, v93, -v119
	v_fma_f32 v44, v26, v95, -v94
	;; [unrolled: 1-line block ×6, first 2 shown]
	v_dual_fmamk_f32 v88, v85, 0x3f5db3d7, v118 :: v_dual_fmac_f32 v75, v42, v95
	v_add_f32_e32 v24, v28, v44
	ds_store_2addr_b32 v0, v84, v86 offset1:150
	ds_store_b32 v0, v83 offset:1200
	v_add_f32_e32 v87, v87, v82
	v_mul_f32_e32 v104, v39, v106
	v_mul_f32_e32 v25, v19, v106
	;; [unrolled: 1-line block ×3, first 2 shown]
	v_dual_mul_f32 v13, v17, v108 :: v_dual_fmac_f32 v118, 0xbf5db3d7, v85
	v_fmac_f32_e32 v49, v45, v99
	v_fma_f32 v19, v19, v105, -v104
	v_dual_add_f32 v45, v11, v23 :: v_dual_mul_f32 v108, v40, v110
	v_mul_f32_e32 v27, v20, v110
	v_mul_f32_e32 v110, v8, v112
	;; [unrolled: 1-line block ×3, first 2 shown]
	v_dual_mul_f32 v15, v18, v112 :: v_dual_mul_f32 v112, v55, v114
	v_dual_mul_f32 v41, v56, v114 :: v_dual_mul_f32 v114, v53, v116
	s_delay_alu instid0(VALU_DEP_2)
	v_dual_fmac_f32 v52, v47, v97 :: v_dual_fmac_f32 v15, v8, v111
	v_dual_fmac_f32 v50, v48, v101 :: v_dual_fmac_f32 v13, v7, v107
	;; [unrolled: 1-line block ×3, first 2 shown]
	v_fma_f32 v17, v17, v107, -v106
	v_fma_f32 v7, v20, v109, -v108
	v_dual_fmac_f32 v27, v40, v109 :: v_dual_fmac_f32 v32, v53, v115
	v_fma_f32 v18, v18, v111, -v110
	v_add_f32_e32 v46, v23, v26
	v_add_f32_e32 v53, v21, v22
	v_fma_f32 v39, v56, v113, -v112
	v_fmac_f32_e32 v41, v55, v113
	v_fma_f32 v40, v54, v115, -v114
	v_dual_fmamk_f32 v8, v91, 0x3f5db3d7, v16 :: v_dual_sub_f32 v47, v52, v49
	v_add_f32_e32 v20, v14, v28
	v_dual_sub_f32 v42, v77, v75 :: v_dual_add_f32 v85, v7, v18
	v_dual_sub_f32 v54, v50, v30 :: v_dual_sub_f32 v83, v25, v13
	v_add_f32_e32 v55, v9, v19
	v_add_f32_e32 v84, v10, v7
	;; [unrolled: 1-line block ×3, first 2 shown]
	v_fmac_f32_e32 v14, -0.5, v24
	v_fma_f32 v11, -0.5, v46, v11
	v_add_f32_e32 v48, v12, v21
	v_fmac_f32_e32 v12, -0.5, v53
	v_fmac_f32_e32 v16, 0xbf5db3d7, v91
	v_sub_f32_e32 v86, v27, v15
	ds_store_2addr_b32 v66, v87, v8 offset1:150
	ds_store_b32 v66, v16 offset:1200
	ds_store_2addr_b32 v65, v117, v88 offset0:96 offset1:246
	ds_store_b32 v57, v118 offset:3120
	v_fmac_f32_e32 v10, -0.5, v85
	v_fmamk_f32 v46, v42, 0x3f5db3d7, v14
	v_fmac_f32_e32 v14, 0xbf5db3d7, v42
	v_fmamk_f32 v42, v47, 0x3f5db3d7, v11
	v_fmac_f32_e32 v11, 0xbf5db3d7, v47
	v_dual_fmamk_f32 v47, v54, 0x3f5db3d7, v12 :: v_dual_add_f32 v16, v45, v26
	v_fmamk_f32 v53, v86, 0x3f5db3d7, v10
	v_add_f32_e32 v45, v84, v18
	v_fma_f32 v9, -0.5, v56, v9
	v_add_f32_e32 v8, v20, v44
	v_add_f32_e32 v20, v48, v22
	;; [unrolled: 1-line block ×3, first 2 shown]
	v_fmac_f32_e32 v12, 0xbf5db3d7, v54
	v_fmamk_f32 v48, v83, 0x3f5db3d7, v9
	v_dual_fmac_f32 v9, 0xbf5db3d7, v83 :: v_dual_fmac_f32 v10, 0xbf5db3d7, v86
	ds_store_2addr_b32 v71, v8, v46 offset1:150
	ds_store_b32 v71, v14 offset:1200
	ds_store_2addr_b32 v72, v16, v42 offset0:4 offset1:154
	ds_store_2addr_b32 v89, v20, v47 offset0:70 offset1:220
	ds_store_b32 v67, v11 offset:4800
	ds_store_b32 v68, v12 offset:6600
	ds_store_2addr_b32 v70, v24, v48 offset1:150
	ds_store_b32 v70, v9 offset:1200
	ds_store_2addr_b32 v90, v45, v53 offset0:8 offset1:158
	ds_store_b32 v69, v10 offset:8400
	s_and_saveexec_b32 s1, s0
	s_cbranch_execz .LBB0_33
; %bb.32:
	v_add_f32_e32 v8, v39, v40
	v_dual_sub_f32 v9, v41, v32 :: v_dual_add_f32 v10, v58, v39
	v_add_nc_u32_e32 v11, 0x1c00, v64
	s_delay_alu instid0(VALU_DEP_3) | instskip(NEXT) | instid1(VALU_DEP_3)
	v_fma_f32 v8, -0.5, v8, v58
	v_add_f32_e32 v10, v10, v40
	s_delay_alu instid0(VALU_DEP_2)
	v_fmamk_f32 v12, v9, 0xbf5db3d7, v8
	v_fmac_f32_e32 v8, 0x3f5db3d7, v9
	ds_store_2addr_b32 v11, v10, v8 offset0:8 offset1:158
	ds_store_b32 v64, v12 offset:8400
.LBB0_33:
	s_wait_alu 0xfffe
	s_or_b32 exec_lo, exec_lo, s1
	v_dual_add_f32 v8, v76, v73 :: v_dual_add_f32 v9, v33, v76
	v_dual_sub_f32 v10, v78, v80 :: v_dual_add_f32 v11, v79, v74
	global_wb scope:SCOPE_SE
	s_wait_dscnt 0x0
	v_fma_f32 v33, -0.5, v8, v33
	v_add_f32_e32 v8, v34, v79
	v_sub_f32_e32 v12, v81, v82
	v_fmac_f32_e32 v34, -0.5, v11
	s_barrier_signal -1
	v_dual_fmamk_f32 v45, v10, 0xbf5db3d7, v33 :: v_dual_add_f32 v42, v9, v73
	v_fmac_f32_e32 v33, 0x3f5db3d7, v10
	v_dual_add_f32 v46, v8, v74 :: v_dual_add_f32 v9, v35, v51
	v_add_f32_e32 v8, v51, v29
	s_barrier_wait -1
	global_inv scope:SCOPE_SE
	v_dual_add_f32 v11, v38, v27 :: v_dual_add_nc_u32 v20, 0x1e00, v0
	v_fma_f32 v35, -0.5, v8, v35
	v_dual_sub_f32 v8, v31, v43 :: v_dual_add_f32 v43, v9, v29
	v_fmamk_f32 v47, v12, 0xbf5db3d7, v34
	v_dual_fmac_f32 v34, 0x3f5db3d7, v12 :: v_dual_add_f32 v9, v36, v77
	v_dual_add_f32 v56, v11, v15 :: v_dual_add_nc_u32 v31, 0x1800, v0
	v_add_nc_u32_e32 v11, 0xc00, v0
	s_delay_alu instid0(VALU_DEP_3) | instskip(SKIP_3) | instid1(VALU_DEP_2)
	v_dual_sub_f32 v7, v7, v18 :: v_dual_add_f32 v48, v9, v75
	v_add_f32_e32 v9, v5, v52
	v_add_f32_e32 v10, v77, v75
	v_add_nc_u32_e32 v18, 0x1400, v0
	v_dual_fmac_f32 v36, -0.5, v10 :: v_dual_add_nc_u32 v29, 0xa00, v0
	v_sub_f32_e32 v10, v28, v44
	v_fmamk_f32 v44, v8, 0xbf5db3d7, v35
	v_dual_fmac_f32 v35, 0x3f5db3d7, v8 :: v_dual_add_f32 v8, v52, v49
	v_add_f32_e32 v49, v9, v49
	v_add_f32_e32 v9, v6, v50
	v_fmamk_f32 v51, v10, 0xbf5db3d7, v36
	v_fmac_f32_e32 v36, 0x3f5db3d7, v10
	v_add_f32_e32 v10, v50, v30
	s_delay_alu instid0(VALU_DEP_4) | instskip(SKIP_2) | instid1(VALU_DEP_4)
	v_dual_add_f32 v52, v9, v30 :: v_dual_add_f32 v9, v27, v15
	v_fma_f32 v5, -0.5, v8, v5
	v_sub_f32_e32 v8, v23, v26
	v_fmac_f32_e32 v6, -0.5, v10
	v_sub_f32_e32 v10, v21, v22
	v_dual_fmac_f32 v38, -0.5, v9 :: v_dual_add_nc_u32 v9, 0x400, v0
	s_delay_alu instid0(VALU_DEP_4)
	v_fmamk_f32 v50, v8, 0xbf5db3d7, v5
	v_dual_fmac_f32 v5, 0x3f5db3d7, v8 :: v_dual_add_f32 v8, v25, v13
	v_add_nc_u32_e32 v15, 0x1c00, v0
	v_fmamk_f32 v53, v10, 0xbf5db3d7, v6
	v_fmac_f32_e32 v6, 0x3f5db3d7, v10
	v_add_f32_e32 v10, v37, v25
	v_fma_f32 v37, -0.5, v8, v37
	v_dual_sub_f32 v8, v19, v17 :: v_dual_add_nc_u32 v17, 0x800, v0
	s_delay_alu instid0(VALU_DEP_3) | instskip(SKIP_1) | instid1(VALU_DEP_3)
	v_dual_add_f32 v54, v10, v13 :: v_dual_add_nc_u32 v19, 0x1000, v0
	v_add_nc_u32_e32 v13, 0x1200, v0
	v_fmamk_f32 v55, v8, 0xbf5db3d7, v37
	v_fmac_f32_e32 v37, 0x3f5db3d7, v8
	v_fmamk_f32 v58, v7, 0xbf5db3d7, v38
	v_fmac_f32_e32 v38, 0x3f5db3d7, v7
	ds_load_2addr_b32 v[7:8], v0 offset1:90
	ds_load_2addr_b32 v[9:10], v9 offset0:104 offset1:194
	ds_load_2addr_b32 v[11:12], v11 offset0:132 offset1:222
	;; [unrolled: 1-line block ×6, first 2 shown]
	v_add_nc_u32_e32 v17, 0x200, v0
	ds_load_2addr_b32 v[17:18], v17 offset0:52 offset1:142
	ds_load_2addr_b32 v[25:26], v19 offset0:56 offset1:146
	;; [unrolled: 1-line block ×5, first 2 shown]
	ds_load_b32 v31, v0 offset:8640
	global_wb scope:SCOPE_SE
	s_wait_dscnt 0x0
	s_barrier_signal -1
	s_barrier_wait -1
	global_inv scope:SCOPE_SE
	ds_store_2addr_b32 v0, v42, v45 offset1:150
	ds_store_b32 v0, v33 offset:1200
	ds_store_2addr_b32 v66, v46, v47 offset1:150
	ds_store_b32 v66, v34 offset:1200
	ds_store_2addr_b32 v65, v43, v44 offset0:96 offset1:246
	v_add_nc_u32_e32 v33, 0x1400, v68
	ds_store_b32 v57, v35 offset:3120
	ds_store_2addr_b32 v71, v48, v51 offset1:150
	ds_store_b32 v71, v36 offset:1200
	ds_store_2addr_b32 v72, v49, v50 offset0:4 offset1:154
	ds_store_2addr_b32 v33, v52, v53 offset0:70 offset1:220
	v_add_nc_u32_e32 v33, 0x1c00, v69
	ds_store_b32 v67, v5 offset:4800
	ds_store_b32 v68, v6 offset:6600
	ds_store_2addr_b32 v70, v54, v55 offset1:150
	ds_store_b32 v70, v37 offset:1200
	ds_store_2addr_b32 v33, v56, v58 offset0:8 offset1:158
	ds_store_b32 v69, v38 offset:8400
	s_and_saveexec_b32 s1, s0
	s_cbranch_execz .LBB0_35
; %bb.34:
	v_dual_add_f32 v5, v41, v32 :: v_dual_add_f32 v6, v59, v41
	v_sub_f32_e32 v33, v39, v40
	s_delay_alu instid0(VALU_DEP_2) | instskip(SKIP_1) | instid1(VALU_DEP_2)
	v_dual_fmac_f32 v59, -0.5, v5 :: v_dual_add_f32 v6, v6, v32
	v_add_nc_u32_e32 v5, 0x1c00, v64
	v_fmamk_f32 v32, v33, 0xbf5db3d7, v59
	v_fmamk_f32 v33, v33, 0x3f5db3d7, v59
	ds_store_2addr_b32 v5, v6, v32 offset0:8 offset1:158
	ds_store_b32 v64, v33 offset:8400
.LBB0_35:
	s_wait_alu 0xfffe
	s_or_b32 exec_lo, exec_lo, s1
	global_wb scope:SCOPE_SE
	s_wait_dscnt 0x0
	s_barrier_signal -1
	s_barrier_wait -1
	global_inv scope:SCOPE_SE
	s_and_saveexec_b32 s0, vcc_lo
	s_cbranch_execz .LBB0_37
; %bb.36:
	v_dual_mov_b32 v6, 0 :: v_dual_lshlrev_b32 v5, 2, v63
	v_mul_lo_u32 v97, s3, v3
	v_mul_lo_u32 v98, s2, v4
	v_mad_co_u64_u32 v[72:73], null, s2, v3, 0
	s_delay_alu instid0(VALU_DEP_4) | instskip(NEXT) | instid1(VALU_DEP_2)
	v_lshlrev_b64_e32 v[32:33], 3, v[5:6]
	v_add3_u32 v73, v73, v98, v97
	s_delay_alu instid0(VALU_DEP_2) | instskip(SKIP_1) | instid1(VALU_DEP_3)
	v_add_co_u32 v36, vcc_lo, s8, v32
	s_wait_alu 0xfffd
	v_add_co_ci_u32_e32 v37, vcc_lo, s9, v33, vcc_lo
	s_clause 0x1
	global_load_b128 v[32:35], v[36:37], off offset:3520
	global_load_b128 v[36:39], v[36:37], off offset:3536
	v_lshlrev_b32_e32 v5, 2, v62
	v_add_nc_u32_e32 v74, 0xa00, v0
	v_add_nc_u32_e32 v76, 0x1800, v0
	;; [unrolled: 1-line block ×3, first 2 shown]
	s_delay_alu instid0(VALU_DEP_4) | instskip(SKIP_1) | instid1(VALU_DEP_1)
	v_lshlrev_b64_e32 v[40:41], 3, v[5:6]
	v_lshlrev_b32_e32 v5, 2, v60
	v_lshlrev_b64_e32 v[48:49], 3, v[5:6]
	v_lshlrev_b32_e32 v5, 2, v61
	s_delay_alu instid0(VALU_DEP_4) | instskip(SKIP_2) | instid1(VALU_DEP_3)
	v_add_co_u32 v44, vcc_lo, s8, v40
	s_wait_alu 0xfffd
	v_add_co_ci_u32_e32 v45, vcc_lo, s9, v41, vcc_lo
	v_lshlrev_b64_e32 v[56:57], 3, v[5:6]
	v_lshlrev_b32_e32 v5, 2, v92
	v_add_co_u32 v52, vcc_lo, s8, v48
	s_clause 0x1
	global_load_b128 v[40:43], v[44:45], off offset:3520
	global_load_b128 v[44:47], v[44:45], off offset:3536
	s_wait_alu 0xfffd
	v_add_co_ci_u32_e32 v53, vcc_lo, s9, v49, vcc_lo
	v_lshlrev_b64_e32 v[64:65], 3, v[5:6]
	v_add_co_u32 v60, vcc_lo, s8, v56
	s_clause 0x1
	global_load_b128 v[48:51], v[52:53], off offset:3520
	global_load_b128 v[52:55], v[52:53], off offset:3536
	s_wait_alu 0xfffd
	v_add_co_ci_u32_e32 v61, vcc_lo, s9, v57, vcc_lo
	v_add_co_u32 v68, vcc_lo, s8, v64
	s_clause 0x1
	global_load_b128 v[56:59], v[60:61], off offset:3520
	global_load_b128 v[60:63], v[60:61], off offset:3536
	s_wait_alu 0xfffd
	v_add_co_ci_u32_e32 v69, vcc_lo, s9, v65, vcc_lo
	s_clause 0x1
	global_load_b128 v[64:67], v[68:69], off offset:3520
	global_load_b128 v[68:71], v[68:69], off offset:3536
	ds_load_b32 v99, v0 offset:8640
	v_add_nc_u32_e32 v84, 0x1e00, v0
	s_wait_loadcnt_dscnt 0x800
	v_dual_mul_f32 v98, v38, v99 :: v_dual_add_nc_u32 v93, 0xc00, v0
	v_add_nc_u32_e32 v3, 0x1200, v0
	v_mul_f32_e32 v99, v39, v99
	s_delay_alu instid0(VALU_DEP_3)
	v_fmac_f32_e32 v98, v31, v39
	ds_load_2addr_b32 v[4:5], v3 offset0:108 offset1:198
	ds_load_2addr_b32 v[74:75], v74 offset0:80 offset1:170
	;; [unrolled: 1-line block ×3, first 2 shown]
	v_add_nc_u32_e32 v80, 0x400, v0
	v_add_nc_u32_e32 v3, 0x1000, v0
	;; [unrolled: 1-line block ×4, first 2 shown]
	s_wait_dscnt 0x0
	v_dual_mul_f32 v97, v36, v77 :: v_dual_add_nc_u32 v90, 0x1400, v0
	v_mul_f32_e32 v77, v37, v77
	s_delay_alu instid0(VALU_DEP_2)
	v_fmac_f32_e32 v97, v20, v37
	ds_load_2addr_b32 v[78:79], v0 offset1:90
	ds_load_2addr_b32 v[80:81], v80 offset0:104 offset1:194
	ds_load_2addr_b32 v[82:83], v3 offset0:56 offset1:146
	;; [unrolled: 1-line block ×8, first 2 shown]
	v_dual_mul_f32 v0, v34, v4 :: v_dual_mul_f32 v3, v32, v75
	v_dual_mul_f32 v75, v33, v75 :: v_dual_mul_f32 v4, v35, v4
	s_delay_alu instid0(VALU_DEP_2) | instskip(NEXT) | instid1(VALU_DEP_2)
	v_dual_fmac_f32 v0, v13, v35 :: v_dual_fmac_f32 v3, v30, v33
	v_fma_f32 v30, v30, v32, -v75
	v_fma_f32 v32, v31, v38, -v99
	s_delay_alu instid0(VALU_DEP_4)
	v_fma_f32 v13, v13, v34, -v4
	v_fma_f32 v31, v20, v36, -v77
	s_wait_loadcnt 0x7
	v_mul_f32_e32 v34, v40, v74
	s_wait_loadcnt 0x6
	v_mul_f32_e32 v35, v44, v76
	s_wait_dscnt 0x5
	v_dual_mul_f32 v33, v42, v83 :: v_dual_mul_f32 v20, v47, v85
	v_mul_f32_e32 v36, v46, v85
	v_dual_mul_f32 v4, v41, v74 :: v_dual_mul_f32 v37, v43, v83
	v_dual_mul_f32 v38, v45, v76 :: v_dual_sub_f32 v39, v0, v3
	v_add_f32_e32 v76, v3, v98
	v_dual_sub_f32 v74, v97, v98 :: v_dual_sub_f32 v75, v30, v32
	v_dual_sub_f32 v104, v0, v97 :: v_dual_sub_f32 v77, v13, v31
	v_add_f32_e32 v100, v3, v80
	v_dual_sub_f32 v83, v3, v0 :: v_dual_sub_f32 v106, v30, v13
	v_dual_sub_f32 v85, v98, v97 :: v_dual_sub_f32 v102, v31, v32
	v_dual_add_f32 v99, v0, v97 :: v_dual_add_f32 v108, v13, v31
	v_dual_sub_f32 v101, v13, v30 :: v_dual_fmac_f32 v36, v28, v47
	v_dual_add_f32 v103, v30, v32 :: v_dual_add_f32 v30, v9, v30
	v_dual_sub_f32 v105, v3, v98 :: v_dual_fmac_f32 v34, v29, v41
	v_sub_f32_e32 v107, v32, v31
	v_fmac_f32_e32 v33, v26, v43
	v_fmac_f32_e32 v35, v19, v45
	v_fma_f32 v29, v29, v40, -v4
	v_fma_f32 v40, v28, v46, -v20
	s_wait_loadcnt_dscnt 0x402
	v_mul_f32_e32 v46, v53, v91
	v_fma_f32 v37, v26, v42, -v37
	v_fma_f32 v38, v19, v44, -v38
	v_dual_mul_f32 v41, v50, v82 :: v_dual_mul_f32 v26, v49, v89
	v_mul_f32_e32 v42, v48, v89
	v_dual_mul_f32 v43, v52, v91 :: v_dual_mul_f32 v28, v55, v84
	v_dual_mul_f32 v44, v54, v84 :: v_dual_mul_f32 v45, v51, v82
	v_dual_add_f32 v0, v0, v100 :: v_dual_add_f32 v39, v39, v74
	v_fma_f32 v4, -0.5, v76, v80
	v_dual_add_f32 v76, v106, v107 :: v_dual_add_f32 v47, v83, v85
	v_add_f32_e32 v74, v101, v102
	v_fma_f32 v20, -0.5, v99, v80
	v_fma_f32 v3, -0.5, v103, v9
	;; [unrolled: 1-line block ×3, first 2 shown]
	v_dual_add_f32 v9, v13, v30 :: v_dual_sub_f32 v30, v35, v36
	v_dual_sub_f32 v13, v33, v34 :: v_dual_add_f32 v82, v34, v36
	v_dual_sub_f32 v80, v29, v40 :: v_dual_sub_f32 v85, v36, v35
	v_dual_sub_f32 v83, v37, v38 :: v_dual_sub_f32 v84, v34, v33
	v_dual_add_f32 v89, v33, v35 :: v_dual_sub_f32 v100, v38, v40
	v_add_f32_e32 v91, v34, v87
	v_dual_sub_f32 v99, v37, v29 :: v_dual_sub_f32 v106, v40, v38
	v_dual_add_f32 v101, v29, v40 :: v_dual_add_f32 v108, v18, v29
	v_dual_sub_f32 v102, v33, v35 :: v_dual_sub_f32 v103, v34, v36
	v_sub_f32_e32 v34, v29, v37
	v_dual_add_f32 v107, v37, v38 :: v_dual_fmac_f32 v42, v24, v49
	v_fmac_f32_e32 v41, v25, v51
	v_dual_fmac_f32 v43, v22, v53 :: v_dual_fmac_f32 v44, v27, v55
	v_fma_f32 v48, v24, v48, -v26
	v_fma_f32 v49, v27, v54, -v28
	;; [unrolled: 1-line block ×4, first 2 shown]
	s_wait_loadcnt_dscnt 0x301
	v_dual_mul_f32 v50, v58, v94 :: v_dual_mul_f32 v51, v56, v88
	s_wait_loadcnt_dscnt 0x200
	v_dual_mul_f32 v52, v60, v90 :: v_dual_mul_f32 v53, v62, v96
	v_dual_mul_f32 v22, v57, v88 :: v_dual_mul_f32 v55, v59, v94
	v_dual_mul_f32 v54, v63, v96 :: v_dual_fmamk_f32 v27, v77, 0xbf737871, v4
	v_mul_f32_e32 v88, v61, v90
	v_dual_fmac_f32 v4, 0x3f737871, v77 :: v_dual_add_f32 v9, v9, v31
	v_dual_fmamk_f32 v25, v75, 0x3f737871, v20 :: v_dual_add_f32 v0, v97, v0
	v_fmac_f32_e32 v20, 0xbf737871, v75
	v_fmamk_f32 v26, v104, 0x3f737871, v3
	v_fmac_f32_e32 v3, 0xbf737871, v104
	v_fmamk_f32 v24, v105, 0xbf737871, v19
	v_dual_fmac_f32 v19, 0x3f737871, v105 :: v_dual_add_f32 v90, v13, v30
	v_fma_f32 v29, -0.5, v82, v87
	v_add_f32_e32 v82, v84, v85
	v_fma_f32 v31, -0.5, v89, v87
	v_dual_add_f32 v84, v33, v91 :: v_dual_sub_f32 v89, v48, v49
	v_add_f32_e32 v85, v99, v100
	v_fma_f32 v28, -0.5, v101, v18
	v_add_f32_e32 v87, v34, v106
	v_fma_f32 v30, -0.5, v107, v18
	v_dual_add_f32 v18, v37, v108 :: v_dual_sub_f32 v97, v44, v43
	v_dual_sub_f32 v34, v41, v42 :: v_dual_add_f32 v91, v42, v44
	v_dual_sub_f32 v37, v43, v44 :: v_dual_sub_f32 v94, v45, v46
	v_add_f32_e32 v107, v48, v49
	v_dual_sub_f32 v96, v42, v41 :: v_dual_add_f32 v99, v41, v43
	v_dual_add_f32 v100, v42, v86 :: v_dual_sub_f32 v101, v45, v48
	v_dual_sub_f32 v106, v46, v49 :: v_dual_add_f32 v111, v45, v46
	v_dual_sub_f32 v108, v41, v43 :: v_dual_sub_f32 v109, v48, v45
	v_dual_sub_f32 v42, v42, v44 :: v_dual_fmac_f32 v51, v23, v57
	v_dual_sub_f32 v110, v49, v46 :: v_dual_fmac_f32 v53, v16, v63
	s_wait_loadcnt 0x1
	v_dual_add_f32 v48, v17, v48 :: v_dual_mul_f32 v57, v64, v81
	v_fmac_f32_e32 v50, v12, v59
	s_wait_loadcnt 0x0
	v_dual_fmac_f32 v52, v21, v61 :: v_dual_mul_f32 v59, v70, v95
	v_fma_f32 v23, v23, v56, -v22
	v_fma_f32 v16, v16, v62, -v54
	;; [unrolled: 1-line block ×4, first 2 shown]
	v_dual_mul_f32 v56, v66, v93 :: v_dual_mul_f32 v61, v71, v95
	v_dual_mul_f32 v58, v68, v5 :: v_dual_fmac_f32 v27, 0x3f167918, v75
	v_dual_mul_f32 v60, v65, v81 :: v_dual_add_f32 v13, v98, v0
	v_dual_mul_f32 v62, v67, v93 :: v_dual_fmac_f32 v19, 0x3f167918, v104
	v_dual_mul_f32 v5, v69, v5 :: v_dual_fmac_f32 v4, 0xbf167918, v75
	v_dual_fmac_f32 v25, 0x3f167918, v77 :: v_dual_add_f32 v12, v9, v32
	v_dual_fmac_f32 v20, 0xbf167918, v77 :: v_dual_add_f32 v77, v101, v106
	;; [unrolled: 1-line block ×5, first 2 shown]
	v_fmamk_f32 v33, v83, 0xbf737871, v29
	v_dual_fmac_f32 v29, 0x3f737871, v83 :: v_dual_fmamk_f32 v32, v102, 0x3f737871, v28
	v_fmamk_f32 v22, v80, 0x3f737871, v31
	v_fmac_f32_e32 v28, 0xbf737871, v102
	v_fmamk_f32 v21, v103, 0xbf737871, v30
	v_dual_fmac_f32 v30, 0x3f737871, v103 :: v_dual_add_f32 v75, v96, v97
	v_add_f32_e32 v9, v18, v38
	v_fma_f32 v35, -0.5, v91, v86
	v_fma_f32 v18, -0.5, v99, v86
	v_add_f32_e32 v38, v41, v100
	v_fma_f32 v34, -0.5, v107, v17
	v_fma_f32 v17, -0.5, v111, v17
	v_add_f32_e32 v41, v45, v48
	v_dual_sub_f32 v45, v50, v51 :: v_dual_sub_f32 v84, v23, v16
	v_dual_add_f32 v86, v51, v53 :: v_dual_sub_f32 v93, v53, v52
	v_dual_sub_f32 v88, v54, v55 :: v_dual_sub_f32 v91, v51, v50
	v_dual_add_f32 v95, v50, v52 :: v_dual_add_f32 v96, v51, v79
	v_dual_sub_f32 v97, v54, v23 :: v_dual_sub_f32 v98, v55, v16
	v_dual_add_f32 v99, v23, v16 :: v_dual_sub_f32 v104, v16, v55
	v_dual_sub_f32 v100, v50, v52 :: v_dual_sub_f32 v101, v51, v53
	v_dual_sub_f32 v51, v23, v54 :: v_dual_fmac_f32 v58, v14, v69
	v_dual_add_f32 v105, v54, v55 :: v_dual_fmac_f32 v26, 0x3e9e377a, v74
	v_dual_add_f32 v23, v8, v23 :: v_dual_fmac_f32 v24, 0x3e9e377a, v76
	v_dual_fmac_f32 v56, v11, v67 :: v_dual_fmac_f32 v57, v10, v65
	v_fmac_f32_e32 v59, v15, v71
	v_dual_fmac_f32 v31, 0xbf737871, v80 :: v_dual_sub_f32 v48, v52, v53
	v_fma_f32 v60, v10, v64, -v60
	v_fma_f32 v61, v15, v70, -v61
	;; [unrolled: 1-line block ×4, first 2 shown]
	v_fmac_f32_e32 v27, 0x3e9e377a, v39
	v_dual_fmac_f32 v4, 0x3e9e377a, v39 :: v_dual_fmac_f32 v3, 0x3e9e377a, v74
	v_dual_fmac_f32 v25, 0x3e9e377a, v47 :: v_dual_add_f32 v46, v41, v46
	v_dual_fmac_f32 v33, 0x3f167918, v80 :: v_dual_fmac_f32 v22, 0x3f167918, v83
	v_dual_fmac_f32 v29, 0xbf167918, v80 :: v_dual_fmac_f32 v32, 0xbf167918, v103
	v_add_f32_e32 v10, v36, v0
	v_dual_fmac_f32 v28, 0x3f167918, v103 :: v_dual_add_f32 v9, v9, v40
	v_fmamk_f32 v15, v94, 0xbf737871, v35
	v_dual_fmac_f32 v35, 0x3f737871, v94 :: v_dual_fmamk_f32 v14, v108, 0x3f737871, v34
	v_dual_fmamk_f32 v37, v89, 0x3f737871, v18 :: v_dual_add_f32 v50, v50, v96
	v_fmac_f32_e32 v18, 0xbf737871, v89
	v_add_f32_e32 v0, v43, v38
	v_fmac_f32_e32 v34, 0xbf737871, v108
	v_dual_fmamk_f32 v36, v42, 0xbf737871, v17 :: v_dual_sub_f32 v67, v11, v5
	v_fmac_f32_e32 v17, 0x3f737871, v42
	v_fma_f32 v39, -0.5, v86, v79
	v_fma_f32 v38, -0.5, v99, v8
	;; [unrolled: 1-line block ×3, first 2 shown]
	v_add_f32_e32 v8, v54, v23
	v_dual_add_f32 v66, v57, v59 :: v_dual_fmac_f32 v29, 0x3e9e377a, v90
	v_dual_fmac_f32 v31, 0xbf167918, v83 :: v_dual_add_f32 v48, v45, v48
	v_dual_fmac_f32 v30, 0x3f167918, v102 :: v_dual_add_f32 v65, v51, v104
	v_fma_f32 v41, -0.5, v95, v79
	v_dual_add_f32 v64, v97, v98 :: v_dual_sub_f32 v51, v58, v59
	v_dual_sub_f32 v23, v56, v57 :: v_dual_fmac_f32 v22, 0x3e9e377a, v82
	v_add_f32_e32 v43, v44, v0
	v_dual_fmac_f32 v15, 0x3f167918, v89 :: v_dual_fmac_f32 v34, 0x3f167918, v42
	v_dual_fmac_f32 v35, 0xbf167918, v89 :: v_dual_fmac_f32 v18, 0xbf167918, v94
	v_fmac_f32_e32 v37, 0x3f167918, v94
	v_dual_fmac_f32 v17, 0x3f167918, v108 :: v_dual_add_f32 v0, v52, v50
	v_fmamk_f32 v45, v88, 0xbf737871, v39
	v_dual_fmac_f32 v39, 0x3f737871, v88 :: v_dual_fmamk_f32 v44, v100, 0x3f737871, v38
	v_fmac_f32_e32 v14, 0xbf167918, v42
	v_add_f32_e32 v42, v46, v49
	v_fmac_f32_e32 v38, 0xbf737871, v100
	s_delay_alu instid0(VALU_DEP_4)
	v_dual_fmac_f32 v39, 0xbf167918, v84 :: v_dual_add_f32 v8, v8, v55
	v_fmac_f32_e32 v45, 0x3f167918, v84
	v_fma_f32 v49, -0.5, v66, v78
	v_dual_fmac_f32 v20, 0x3e9e377a, v47 :: v_dual_fmac_f32 v19, 0x3e9e377a, v76
	v_dual_fmac_f32 v21, 0xbf167918, v102 :: v_dual_add_f32 v62, v91, v93
	v_dual_sub_f32 v54, v60, v61 :: v_dual_fmac_f32 v33, 0x3e9e377a, v90
	s_delay_alu instid0(VALU_DEP_2)
	v_dual_add_f32 v68, v56, v58 :: v_dual_fmac_f32 v21, 0x3e9e377a, v87
	v_dual_fmac_f32 v28, 0x3e9e377a, v85 :: v_dual_add_f32 v23, v23, v51
	v_fmamk_f32 v47, v84, 0x3f737871, v41
	v_dual_fmac_f32 v41, 0xbf737871, v84 :: v_dual_fmamk_f32 v46, v101, 0xbf737871, v40
	v_fmac_f32_e32 v40, 0x3f737871, v101
	v_dual_fmac_f32 v18, 0x3e9e377a, v75 :: v_dual_add_f32 v51, v53, v0
	v_dual_add_f32 v50, v8, v16 :: v_dual_fmamk_f32 v53, v67, 0xbf737871, v49
	v_dual_fmac_f32 v49, 0x3f737871, v67 :: v_dual_sub_f32 v0, v57, v56
	v_fmac_f32_e32 v36, 0xbf167918, v108
	s_delay_alu instid0(VALU_DEP_3) | instskip(NEXT) | instid1(VALU_DEP_3)
	v_dual_fmac_f32 v40, 0x3f167918, v100 :: v_dual_fmac_f32 v53, 0x3f167918, v54
	v_fmac_f32_e32 v49, 0xbf167918, v54
	v_fma_f32 v8, -0.5, v68, v78
	v_fmac_f32_e32 v46, 0xbf167918, v100
	s_delay_alu instid0(VALU_DEP_4) | instskip(NEXT) | instid1(VALU_DEP_4)
	v_dual_sub_f32 v16, v59, v58 :: v_dual_fmac_f32 v53, 0x3e9e377a, v23
	v_fmac_f32_e32 v49, 0x3e9e377a, v23
	v_add_f32_e32 v23, v57, v78
	s_delay_alu instid0(VALU_DEP_3) | instskip(SKIP_2) | instid1(VALU_DEP_3)
	v_dual_fmamk_f32 v55, v54, 0x3f737871, v8 :: v_dual_add_f32 v0, v0, v16
	v_dual_fmac_f32 v45, 0x3e9e377a, v48 :: v_dual_fmac_f32 v46, 0x3e9e377a, v65
	v_dual_fmac_f32 v39, 0x3e9e377a, v48 :: v_dual_fmac_f32 v40, 0x3e9e377a, v65
	v_fmac_f32_e32 v55, 0x3f167918, v67
	v_add_f32_e32 v16, v56, v23
	v_dual_add_f32 v48, v60, v61 :: v_dual_fmac_f32 v47, 0x3f167918, v88
	v_fmac_f32_e32 v38, 0x3f167918, v101
	s_delay_alu instid0(VALU_DEP_4) | instskip(NEXT) | instid1(VALU_DEP_4)
	v_fmac_f32_e32 v55, 0x3e9e377a, v0
	v_add_f32_e32 v16, v58, v16
	v_fmac_f32_e32 v8, 0xbf737871, v54
	v_dual_sub_f32 v23, v56, v58 :: v_dual_sub_f32 v56, v5, v61
	v_sub_f32_e32 v58, v57, v59
	v_sub_f32_e32 v54, v11, v60
	v_add_f32_e32 v57, v59, v16
	v_mul_hi_u32 v59, 0x91a2b3c5, v92
	v_dual_fmac_f32 v8, 0xbf167918, v67 :: v_dual_fmac_f32 v41, 0xbf167918, v88
	v_fmac_f32_e32 v44, 0xbf167918, v101
	v_add_f32_e32 v16, v54, v56
	v_add_f32_e32 v56, v11, v5
	v_fma_f32 v48, -0.5, v48, v7
	v_fmac_f32_e32 v8, 0x3e9e377a, v0
	v_sub_f32_e32 v0, v60, v11
	v_sub_f32_e32 v54, v61, v5
	v_add_f32_e32 v60, v7, v60
	v_fma_f32 v7, -0.5, v56, v7
	v_lshrrev_b32_e32 v56, 8, v59
	v_dual_fmac_f32 v47, 0x3e9e377a, v62 :: v_dual_fmac_f32 v44, 0x3e9e377a, v64
	v_dual_fmac_f32 v41, 0x3e9e377a, v62 :: v_dual_fmac_f32 v38, 0x3e9e377a, v64
	v_add_f32_e32 v62, v0, v54
	v_add_f32_e32 v0, v11, v60
	v_add_nc_u32_e32 v11, 0x5a, v92
	v_fmamk_f32 v54, v58, 0xbf737871, v7
	v_fmac_f32_e32 v7, 0x3f737871, v58
	v_mul_u32_u24_e32 v60, 0x1c2, v56
	v_fmamk_f32 v52, v23, 0x3f737871, v48
	v_fmac_f32_e32 v48, 0xbf737871, v23
	v_add_f32_e32 v0, v0, v5
	v_mul_hi_u32 v5, 0x91a2b3c5, v11
	v_fmac_f32_e32 v54, 0xbf167918, v23
	v_fmac_f32_e32 v7, 0x3f167918, v23
	v_sub_nc_u32_e32 v23, v92, v60
	v_add_f32_e32 v56, v0, v61
	v_lshlrev_b64_e32 v[0:1], 3, v[1:2]
	v_fmac_f32_e32 v54, 0x3e9e377a, v62
	v_fmac_f32_e32 v7, 0x3e9e377a, v62
	v_dual_fmac_f32 v48, 0x3f167918, v58 :: v_dual_lshlrev_b32 v23, 3, v23
	v_fmac_f32_e32 v52, 0xbf167918, v58
	v_lshlrev_b64_e32 v[58:59], 3, v[72:73]
	v_lshrrev_b32_e32 v2, 8, v5
	s_delay_alu instid0(VALU_DEP_4)
	v_fmac_f32_e32 v48, 0x3e9e377a, v16
	v_dual_fmac_f32 v30, 0x3e9e377a, v87 :: v_dual_fmac_f32 v17, 0x3e9e377a, v81
	v_fmac_f32_e32 v52, 0x3e9e377a, v16
	v_add_co_u32 v5, vcc_lo, s6, v58
	s_wait_alu 0xfffd
	v_add_co_ci_u32_e32 v58, vcc_lo, s7, v59, vcc_lo
	v_mul_u32_u24_e32 v59, 0x1c2, v2
	s_delay_alu instid0(VALU_DEP_3) | instskip(SKIP_1) | instid1(VALU_DEP_3)
	v_add_co_u32 v60, vcc_lo, v5, v0
	s_wait_alu 0xfffd
	v_add_co_ci_u32_e32 v58, vcc_lo, v58, v1, vcc_lo
	s_delay_alu instid0(VALU_DEP_3) | instskip(NEXT) | instid1(VALU_DEP_3)
	v_sub_nc_u32_e32 v5, v11, v59
	v_add_co_u32 v0, vcc_lo, v60, v23
	s_wait_alu 0xfffd
	s_delay_alu instid0(VALU_DEP_3) | instskip(NEXT) | instid1(VALU_DEP_3)
	v_add_co_ci_u32_e32 v1, vcc_lo, 0, v58, vcc_lo
	v_mad_u32_u24 v5, 0x8ca, v2, v5
	v_add_nc_u32_e32 v2, 0xb4, v92
	s_clause 0x4
	global_store_b64 v[0:1], v[56:57], off
	global_store_b64 v[0:1], v[7:8], off offset:3600
	global_store_b64 v[0:1], v[48:49], off offset:7200
	;; [unrolled: 1-line block ×4, first 2 shown]
	v_mov_b32_e32 v8, v6
	v_lshlrev_b64_e32 v[0:1], 3, v[5:6]
	v_mul_hi_u32 v11, 0x91a2b3c5, v2
	v_add_nc_u32_e32 v7, 0x1c2, v5
	v_add_nc_u32_e32 v48, 0x384, v5
	;; [unrolled: 1-line block ×4, first 2 shown]
	v_mov_b32_e32 v49, v6
	v_lshlrev_b64_e32 v[7:8], 3, v[7:8]
	v_mov_b32_e32 v53, v6
	v_lshrrev_b32_e32 v11, 8, v11
	v_lshlrev_b64_e32 v[54:55], 3, v[5:6]
	v_add_co_u32 v0, vcc_lo, v60, v0
	v_lshlrev_b64_e32 v[48:49], 3, v[48:49]
	s_delay_alu instid0(VALU_DEP_4) | instskip(SKIP_3) | instid1(VALU_DEP_3)
	v_mul_u32_u24_e32 v5, 0x1c2, v11
	s_wait_alu 0xfffd
	v_add_co_ci_u32_e32 v1, vcc_lo, v58, v1, vcc_lo
	v_add_co_u32 v7, vcc_lo, v60, v7
	v_sub_nc_u32_e32 v2, v2, v5
	v_lshlrev_b64_e32 v[52:53], 3, v[52:53]
	s_wait_alu 0xfffd
	v_add_co_ci_u32_e32 v8, vcc_lo, v58, v8, vcc_lo
	v_add_co_u32 v48, vcc_lo, v60, v48
	v_mad_u32_u24 v5, 0x8ca, v11, v2
	v_add_nc_u32_e32 v2, 0x10e, v92
	s_wait_alu 0xfffd
	v_add_co_ci_u32_e32 v49, vcc_lo, v58, v49, vcc_lo
	v_add_co_u32 v52, vcc_lo, v60, v52
	s_delay_alu instid0(VALU_DEP_3)
	v_mul_hi_u32 v11, 0x91a2b3c5, v2
	s_wait_alu 0xfffd
	v_add_co_ci_u32_e32 v53, vcc_lo, v58, v53, vcc_lo
	v_add_co_u32 v54, vcc_lo, v60, v54
	s_wait_alu 0xfffd
	v_add_co_ci_u32_e32 v55, vcc_lo, v58, v55, vcc_lo
	s_clause 0x4
	global_store_b64 v[0:1], v[50:51], off
	global_store_b64 v[7:8], v[40:41], off
	;; [unrolled: 1-line block ×5, first 2 shown]
	v_lshlrev_b64_e32 v[0:1], 3, v[5:6]
	v_add_nc_u32_e32 v7, 0x1c2, v5
	v_add_nc_u32_e32 v38, 0x384, v5
	;; [unrolled: 1-line block ×4, first 2 shown]
	v_lshrrev_b32_e32 v11, 8, v11
	v_mov_b32_e32 v39, v6
	v_mov_b32_e32 v41, v6
	v_add_co_u32 v0, vcc_lo, v60, v0
	v_lshlrev_b64_e32 v[44:45], 3, v[5:6]
	v_mul_u32_u24_e32 v5, 0x1c2, v11
	v_lshlrev_b64_e32 v[38:39], 3, v[38:39]
	s_wait_alu 0xfffd
	v_add_co_ci_u32_e32 v1, vcc_lo, v58, v1, vcc_lo
	v_lshlrev_b64_e32 v[40:41], 3, v[40:41]
	v_sub_nc_u32_e32 v2, v2, v5
	v_dual_fmac_f32 v35, 0x3e9e377a, v63 :: v_dual_fmac_f32 v34, 0x3e9e377a, v77
	v_dual_fmac_f32 v15, 0x3e9e377a, v63 :: v_dual_fmac_f32 v14, 0x3e9e377a, v77
	s_delay_alu instid0(VALU_DEP_3) | instskip(SKIP_3) | instid1(VALU_DEP_4)
	v_mad_u32_u24 v5, 0x8ca, v11, v2
	v_mov_b32_e32 v8, v6
	v_add_nc_u32_e32 v2, 0x168, v92
	v_dual_fmac_f32 v37, 0x3e9e377a, v75 :: v_dual_fmac_f32 v36, 0x3e9e377a, v81
	v_add_nc_u32_e32 v16, 0x546, v5
	s_delay_alu instid0(VALU_DEP_4) | instskip(NEXT) | instid1(VALU_DEP_4)
	v_lshlrev_b64_e32 v[7:8], 3, v[7:8]
	v_mul_hi_u32 v11, 0x91a2b3c5, v2
	v_dual_fmac_f32 v31, 0x3e9e377a, v82 :: v_dual_fmac_f32 v32, 0x3e9e377a, v85
	s_delay_alu instid0(VALU_DEP_3) | instskip(SKIP_1) | instid1(VALU_DEP_4)
	v_add_co_u32 v7, vcc_lo, v60, v7
	s_wait_alu 0xfffd
	v_add_co_ci_u32_e32 v8, vcc_lo, v58, v8, vcc_lo
	v_add_co_u32 v38, vcc_lo, v60, v38
	s_wait_alu 0xfffd
	v_add_co_ci_u32_e32 v39, vcc_lo, v58, v39, vcc_lo
	v_add_co_u32 v40, vcc_lo, v60, v40
	v_lshrrev_b32_e32 v11, 8, v11
	s_wait_alu 0xfffd
	v_add_co_ci_u32_e32 v41, vcc_lo, v58, v41, vcc_lo
	v_add_co_u32 v44, vcc_lo, v60, v44
	s_wait_alu 0xfffd
	v_add_co_ci_u32_e32 v45, vcc_lo, v58, v45, vcc_lo
	s_clause 0x4
	global_store_b64 v[0:1], v[42:43], off
	global_store_b64 v[7:8], v[17:18], off
	;; [unrolled: 1-line block ×5, first 2 shown]
	v_mul_u32_u24_e32 v18, 0x1c2, v11
	v_lshlrev_b64_e32 v[0:1], 3, v[5:6]
	v_add_nc_u32_e32 v7, 0x1c2, v5
	v_add_nc_u32_e32 v14, 0x384, v5
	;; [unrolled: 1-line block ×3, first 2 shown]
	v_sub_nc_u32_e32 v2, v2, v18
	v_mov_b32_e32 v15, v6
	v_mov_b32_e32 v17, v6
	v_add_co_u32 v0, vcc_lo, v60, v0
	v_lshlrev_b64_e32 v[34:35], 3, v[5:6]
	v_mad_u32_u24 v5, 0x8ca, v11, v2
	v_mov_b32_e32 v8, v6
	v_lshlrev_b64_e32 v[14:15], 3, v[14:15]
	s_wait_alu 0xfffd
	v_add_co_ci_u32_e32 v1, vcc_lo, v58, v1, vcc_lo
	v_lshlrev_b64_e32 v[16:17], 3, v[16:17]
	v_lshlrev_b64_e32 v[7:8], 3, v[7:8]
	v_dual_mov_b32 v37, v6 :: v_dual_add_nc_u32 v36, 0x1c2, v5
	s_delay_alu instid0(VALU_DEP_2) | instskip(SKIP_1) | instid1(VALU_DEP_3)
	v_add_co_u32 v7, vcc_lo, v60, v7
	s_wait_alu 0xfffd
	v_add_co_ci_u32_e32 v8, vcc_lo, v58, v8, vcc_lo
	v_add_co_u32 v14, vcc_lo, v60, v14
	s_wait_alu 0xfffd
	v_add_co_ci_u32_e32 v15, vcc_lo, v58, v15, vcc_lo
	;; [unrolled: 3-line block ×3, first 2 shown]
	s_clause 0x3
	global_store_b64 v[0:1], v[9:10], off
	global_store_b64 v[7:8], v[30:31], off
	;; [unrolled: 1-line block ×4, first 2 shown]
	v_add_nc_u32_e32 v9, 0x384, v5
	v_lshlrev_b64_e32 v[0:1], 3, v[5:6]
	v_mov_b32_e32 v10, v6
	v_add_co_u32 v34, vcc_lo, v60, v34
	v_lshlrev_b64_e32 v[7:8], 3, v[36:37]
	v_add_nc_u32_e32 v14, 0x546, v5
	v_add_nc_u32_e32 v5, 0x708, v5
	v_mov_b32_e32 v15, v6
	s_wait_alu 0xfffd
	v_add_co_ci_u32_e32 v35, vcc_lo, v58, v35, vcc_lo
	v_add_co_u32 v0, vcc_lo, v60, v0
	v_lshlrev_b64_e32 v[9:10], 3, v[9:10]
	s_wait_alu 0xfffd
	v_add_co_ci_u32_e32 v1, vcc_lo, v58, v1, vcc_lo
	v_add_co_u32 v7, vcc_lo, v60, v7
	v_lshlrev_b64_e32 v[14:15], 3, v[14:15]
	;; [unrolled: 4-line block ×3, first 2 shown]
	s_wait_alu 0xfffd
	v_add_co_ci_u32_e32 v10, vcc_lo, v58, v10, vcc_lo
	v_add_co_u32 v14, vcc_lo, v60, v14
	s_wait_alu 0xfffd
	v_add_co_ci_u32_e32 v15, vcc_lo, v58, v15, vcc_lo
	v_add_co_u32 v5, vcc_lo, v60, v5
	s_wait_alu 0xfffd
	v_add_co_ci_u32_e32 v6, vcc_lo, v58, v6, vcc_lo
	s_clause 0x5
	global_store_b64 v[34:35], v[21:22], off
	global_store_b64 v[0:1], v[12:13], off
	;; [unrolled: 1-line block ×6, first 2 shown]
.LBB0_37:
	s_nop 0
	s_sendmsg sendmsg(MSG_DEALLOC_VGPRS)
	s_endpgm
	.section	.rodata,"a",@progbits
	.p2align	6, 0x0
	.amdhsa_kernel fft_rtc_fwd_len2250_factors_10_3_5_3_5_wgs_90_tpt_90_halfLds_sp_op_CI_CI_unitstride_sbrr_dirReg
		.amdhsa_group_segment_fixed_size 0
		.amdhsa_private_segment_fixed_size 0
		.amdhsa_kernarg_size 104
		.amdhsa_user_sgpr_count 2
		.amdhsa_user_sgpr_dispatch_ptr 0
		.amdhsa_user_sgpr_queue_ptr 0
		.amdhsa_user_sgpr_kernarg_segment_ptr 1
		.amdhsa_user_sgpr_dispatch_id 0
		.amdhsa_user_sgpr_private_segment_size 0
		.amdhsa_wavefront_size32 1
		.amdhsa_uses_dynamic_stack 0
		.amdhsa_enable_private_segment 0
		.amdhsa_system_sgpr_workgroup_id_x 1
		.amdhsa_system_sgpr_workgroup_id_y 0
		.amdhsa_system_sgpr_workgroup_id_z 0
		.amdhsa_system_sgpr_workgroup_info 0
		.amdhsa_system_vgpr_workitem_id 0
		.amdhsa_next_free_vgpr 146
		.amdhsa_next_free_sgpr 39
		.amdhsa_reserve_vcc 1
		.amdhsa_float_round_mode_32 0
		.amdhsa_float_round_mode_16_64 0
		.amdhsa_float_denorm_mode_32 3
		.amdhsa_float_denorm_mode_16_64 3
		.amdhsa_fp16_overflow 0
		.amdhsa_workgroup_processor_mode 1
		.amdhsa_memory_ordered 1
		.amdhsa_forward_progress 0
		.amdhsa_round_robin_scheduling 0
		.amdhsa_exception_fp_ieee_invalid_op 0
		.amdhsa_exception_fp_denorm_src 0
		.amdhsa_exception_fp_ieee_div_zero 0
		.amdhsa_exception_fp_ieee_overflow 0
		.amdhsa_exception_fp_ieee_underflow 0
		.amdhsa_exception_fp_ieee_inexact 0
		.amdhsa_exception_int_div_zero 0
	.end_amdhsa_kernel
	.text
.Lfunc_end0:
	.size	fft_rtc_fwd_len2250_factors_10_3_5_3_5_wgs_90_tpt_90_halfLds_sp_op_CI_CI_unitstride_sbrr_dirReg, .Lfunc_end0-fft_rtc_fwd_len2250_factors_10_3_5_3_5_wgs_90_tpt_90_halfLds_sp_op_CI_CI_unitstride_sbrr_dirReg
                                        ; -- End function
	.section	.AMDGPU.csdata,"",@progbits
; Kernel info:
; codeLenInByte = 18248
; NumSgprs: 41
; NumVgprs: 146
; ScratchSize: 0
; MemoryBound: 0
; FloatMode: 240
; IeeeMode: 1
; LDSByteSize: 0 bytes/workgroup (compile time only)
; SGPRBlocks: 5
; VGPRBlocks: 18
; NumSGPRsForWavesPerEU: 41
; NumVGPRsForWavesPerEU: 146
; Occupancy: 9
; WaveLimiterHint : 1
; COMPUTE_PGM_RSRC2:SCRATCH_EN: 0
; COMPUTE_PGM_RSRC2:USER_SGPR: 2
; COMPUTE_PGM_RSRC2:TRAP_HANDLER: 0
; COMPUTE_PGM_RSRC2:TGID_X_EN: 1
; COMPUTE_PGM_RSRC2:TGID_Y_EN: 0
; COMPUTE_PGM_RSRC2:TGID_Z_EN: 0
; COMPUTE_PGM_RSRC2:TIDIG_COMP_CNT: 0
	.text
	.p2alignl 7, 3214868480
	.fill 96, 4, 3214868480
	.type	__hip_cuid_838626f2f47aaf29,@object ; @__hip_cuid_838626f2f47aaf29
	.section	.bss,"aw",@nobits
	.globl	__hip_cuid_838626f2f47aaf29
__hip_cuid_838626f2f47aaf29:
	.byte	0                               ; 0x0
	.size	__hip_cuid_838626f2f47aaf29, 1

	.ident	"AMD clang version 19.0.0git (https://github.com/RadeonOpenCompute/llvm-project roc-6.4.0 25133 c7fe45cf4b819c5991fe208aaa96edf142730f1d)"
	.section	".note.GNU-stack","",@progbits
	.addrsig
	.addrsig_sym __hip_cuid_838626f2f47aaf29
	.amdgpu_metadata
---
amdhsa.kernels:
  - .args:
      - .actual_access:  read_only
        .address_space:  global
        .offset:         0
        .size:           8
        .value_kind:     global_buffer
      - .offset:         8
        .size:           8
        .value_kind:     by_value
      - .actual_access:  read_only
        .address_space:  global
        .offset:         16
        .size:           8
        .value_kind:     global_buffer
      - .actual_access:  read_only
        .address_space:  global
        .offset:         24
        .size:           8
        .value_kind:     global_buffer
      - .actual_access:  read_only
        .address_space:  global
        .offset:         32
        .size:           8
        .value_kind:     global_buffer
      - .offset:         40
        .size:           8
        .value_kind:     by_value
      - .actual_access:  read_only
        .address_space:  global
        .offset:         48
        .size:           8
        .value_kind:     global_buffer
      - .actual_access:  read_only
        .address_space:  global
        .offset:         56
        .size:           8
        .value_kind:     global_buffer
      - .offset:         64
        .size:           4
        .value_kind:     by_value
      - .actual_access:  read_only
        .address_space:  global
        .offset:         72
        .size:           8
        .value_kind:     global_buffer
      - .actual_access:  read_only
        .address_space:  global
        .offset:         80
        .size:           8
        .value_kind:     global_buffer
      - .actual_access:  read_only
        .address_space:  global
        .offset:         88
        .size:           8
        .value_kind:     global_buffer
      - .actual_access:  write_only
        .address_space:  global
        .offset:         96
        .size:           8
        .value_kind:     global_buffer
    .group_segment_fixed_size: 0
    .kernarg_segment_align: 8
    .kernarg_segment_size: 104
    .language:       OpenCL C
    .language_version:
      - 2
      - 0
    .max_flat_workgroup_size: 90
    .name:           fft_rtc_fwd_len2250_factors_10_3_5_3_5_wgs_90_tpt_90_halfLds_sp_op_CI_CI_unitstride_sbrr_dirReg
    .private_segment_fixed_size: 0
    .sgpr_count:     41
    .sgpr_spill_count: 0
    .symbol:         fft_rtc_fwd_len2250_factors_10_3_5_3_5_wgs_90_tpt_90_halfLds_sp_op_CI_CI_unitstride_sbrr_dirReg.kd
    .uniform_work_group_size: 1
    .uses_dynamic_stack: false
    .vgpr_count:     146
    .vgpr_spill_count: 0
    .wavefront_size: 32
    .workgroup_processor_mode: 1
amdhsa.target:   amdgcn-amd-amdhsa--gfx1201
amdhsa.version:
  - 1
  - 2
...

	.end_amdgpu_metadata
